;; amdgpu-corpus repo=ROCm/rocFFT kind=compiled arch=gfx950 opt=O3
	.text
	.amdgcn_target "amdgcn-amd-amdhsa--gfx950"
	.amdhsa_code_object_version 6
	.protected	fft_rtc_fwd_len320_factors_10_4_4_2_wgs_64_tpt_16_halfLds_dp_op_CI_CI_sbrr_dirReg ; -- Begin function fft_rtc_fwd_len320_factors_10_4_4_2_wgs_64_tpt_16_halfLds_dp_op_CI_CI_sbrr_dirReg
	.globl	fft_rtc_fwd_len320_factors_10_4_4_2_wgs_64_tpt_16_halfLds_dp_op_CI_CI_sbrr_dirReg
	.p2align	8
	.type	fft_rtc_fwd_len320_factors_10_4_4_2_wgs_64_tpt_16_halfLds_dp_op_CI_CI_sbrr_dirReg,@function
fft_rtc_fwd_len320_factors_10_4_4_2_wgs_64_tpt_16_halfLds_dp_op_CI_CI_sbrr_dirReg: ; @fft_rtc_fwd_len320_factors_10_4_4_2_wgs_64_tpt_16_halfLds_dp_op_CI_CI_sbrr_dirReg
; %bb.0:
	s_load_dwordx4 s[12:15], s[0:1], 0x18
	s_load_dwordx4 s[8:11], s[0:1], 0x0
	;; [unrolled: 1-line block ×3, first 2 shown]
	v_lshrrev_b32_e32 v83, 4, v0
	v_lshl_or_b32 v6, s2, 2, v83
	s_waitcnt lgkmcnt(0)
	s_load_dwordx2 s[18:19], s[12:13], 0x0
	s_load_dwordx2 s[16:17], s[14:15], 0x0
	v_mov_b32_e32 v2, 0
	v_cmp_lt_u64_e64 s[2:3], s[10:11], 2
	v_mov_b32_e32 v7, v2
	s_and_b64 vcc, exec, s[2:3]
	v_mov_b64_e32 v[4:5], 0
	s_cbranch_vccnz .LBB0_8
; %bb.1:
	s_load_dwordx2 s[2:3], s[0:1], 0x10
	s_add_u32 s20, s14, 8
	s_addc_u32 s21, s15, 0
	s_add_u32 s22, s12, 8
	s_addc_u32 s23, s13, 0
	s_waitcnt lgkmcnt(0)
	s_add_u32 s24, s2, 8
	v_mov_b64_e32 v[4:5], 0
	s_addc_u32 s25, s3, 0
	s_mov_b64 s[26:27], 1
	v_mov_b64_e32 v[80:81], v[4:5]
.LBB0_2:                                ; =>This Inner Loop Header: Depth=1
	s_load_dwordx2 s[28:29], s[24:25], 0x0
                                        ; implicit-def: $vgpr84_vgpr85
	s_waitcnt lgkmcnt(0)
	v_or_b32_e32 v3, s29, v7
	v_cmp_ne_u64_e32 vcc, 0, v[2:3]
	s_and_saveexec_b64 s[2:3], vcc
	s_xor_b64 s[30:31], exec, s[2:3]
	s_cbranch_execz .LBB0_4
; %bb.3:                                ;   in Loop: Header=BB0_2 Depth=1
	v_cvt_f32_u32_e32 v1, s28
	v_cvt_f32_u32_e32 v3, s29
	s_sub_u32 s2, 0, s28
	s_subb_u32 s3, 0, s29
	v_fmac_f32_e32 v1, 0x4f800000, v3
	v_rcp_f32_e32 v1, v1
	s_nop 0
	v_mul_f32_e32 v1, 0x5f7ffffc, v1
	v_mul_f32_e32 v3, 0x2f800000, v1
	v_trunc_f32_e32 v3, v3
	v_fmac_f32_e32 v1, 0xcf800000, v3
	v_cvt_u32_f32_e32 v3, v3
	v_cvt_u32_f32_e32 v1, v1
	v_mul_lo_u32 v8, s2, v3
	v_mul_hi_u32 v10, s2, v1
	v_mul_lo_u32 v9, s3, v1
	v_add_u32_e32 v10, v10, v8
	v_mul_lo_u32 v12, s2, v1
	v_add_u32_e32 v13, v10, v9
	v_mul_hi_u32 v8, v1, v12
	v_mul_hi_u32 v11, v1, v13
	v_mul_lo_u32 v10, v1, v13
	v_mov_b32_e32 v9, v2
	v_lshl_add_u64 v[8:9], v[8:9], 0, v[10:11]
	v_mul_hi_u32 v11, v3, v12
	v_mul_lo_u32 v12, v3, v12
	v_add_co_u32_e32 v8, vcc, v8, v12
	v_mul_hi_u32 v10, v3, v13
	s_nop 0
	v_addc_co_u32_e32 v8, vcc, v9, v11, vcc
	v_mov_b32_e32 v9, v2
	s_nop 0
	v_addc_co_u32_e32 v11, vcc, 0, v10, vcc
	v_mul_lo_u32 v10, v3, v13
	v_lshl_add_u64 v[8:9], v[8:9], 0, v[10:11]
	v_add_co_u32_e32 v1, vcc, v1, v8
	v_mul_lo_u32 v10, s2, v1
	s_nop 0
	v_addc_co_u32_e32 v3, vcc, v3, v9, vcc
	v_mul_lo_u32 v8, s2, v3
	v_mul_hi_u32 v9, s2, v1
	v_add_u32_e32 v8, v9, v8
	v_mul_lo_u32 v9, s3, v1
	v_add_u32_e32 v12, v8, v9
	v_mul_hi_u32 v14, v3, v10
	v_mul_lo_u32 v15, v3, v10
	v_mul_hi_u32 v9, v1, v12
	v_mul_lo_u32 v8, v1, v12
	v_mul_hi_u32 v10, v1, v10
	v_mov_b32_e32 v11, v2
	v_lshl_add_u64 v[8:9], v[10:11], 0, v[8:9]
	v_add_co_u32_e32 v8, vcc, v8, v15
	v_mul_hi_u32 v13, v3, v12
	s_nop 0
	v_addc_co_u32_e32 v8, vcc, v9, v14, vcc
	v_mul_lo_u32 v10, v3, v12
	s_nop 0
	v_addc_co_u32_e32 v11, vcc, 0, v13, vcc
	v_mov_b32_e32 v9, v2
	v_lshl_add_u64 v[8:9], v[8:9], 0, v[10:11]
	v_add_co_u32_e32 v1, vcc, v1, v8
	v_mul_hi_u32 v10, v6, v1
	s_nop 0
	v_addc_co_u32_e32 v3, vcc, v3, v9, vcc
	v_mad_u64_u32 v[8:9], s[2:3], v6, v3, 0
	v_mov_b32_e32 v11, v2
	v_lshl_add_u64 v[8:9], v[10:11], 0, v[8:9]
	v_mad_u64_u32 v[12:13], s[2:3], v7, v1, 0
	v_add_co_u32_e32 v1, vcc, v8, v12
	v_mad_u64_u32 v[10:11], s[2:3], v7, v3, 0
	s_nop 0
	v_addc_co_u32_e32 v8, vcc, v9, v13, vcc
	v_mov_b32_e32 v9, v2
	s_nop 0
	v_addc_co_u32_e32 v11, vcc, 0, v11, vcc
	v_lshl_add_u64 v[8:9], v[8:9], 0, v[10:11]
	v_mul_lo_u32 v1, s29, v8
	v_mul_lo_u32 v3, s28, v9
	v_mad_u64_u32 v[10:11], s[2:3], s28, v8, 0
	v_add3_u32 v1, v11, v3, v1
	v_sub_u32_e32 v3, v7, v1
	v_mov_b32_e32 v11, s29
	v_sub_co_u32_e32 v14, vcc, v6, v10
	v_lshl_add_u64 v[12:13], v[8:9], 0, 1
	s_nop 0
	v_subb_co_u32_e64 v3, s[2:3], v3, v11, vcc
	v_subrev_co_u32_e64 v10, s[2:3], s28, v14
	v_subb_co_u32_e32 v1, vcc, v7, v1, vcc
	s_nop 0
	v_subbrev_co_u32_e64 v3, s[2:3], 0, v3, s[2:3]
	v_cmp_le_u32_e64 s[2:3], s29, v3
	v_cmp_le_u32_e32 vcc, s29, v1
	s_nop 0
	v_cndmask_b32_e64 v11, 0, -1, s[2:3]
	v_cmp_le_u32_e64 s[2:3], s28, v10
	s_nop 1
	v_cndmask_b32_e64 v10, 0, -1, s[2:3]
	v_cmp_eq_u32_e64 s[2:3], s29, v3
	s_nop 1
	v_cndmask_b32_e64 v3, v11, v10, s[2:3]
	v_lshl_add_u64 v[10:11], v[8:9], 0, 2
	v_cmp_ne_u32_e64 s[2:3], 0, v3
	s_nop 1
	v_cndmask_b32_e64 v3, v13, v11, s[2:3]
	v_cndmask_b32_e64 v11, 0, -1, vcc
	v_cmp_le_u32_e32 vcc, s28, v14
	s_nop 1
	v_cndmask_b32_e64 v13, 0, -1, vcc
	v_cmp_eq_u32_e32 vcc, s29, v1
	s_nop 1
	v_cndmask_b32_e32 v1, v11, v13, vcc
	v_cmp_ne_u32_e32 vcc, 0, v1
	v_cndmask_b32_e64 v1, v12, v10, s[2:3]
	s_nop 0
	v_cndmask_b32_e32 v85, v9, v3, vcc
	v_cndmask_b32_e32 v84, v8, v1, vcc
.LBB0_4:                                ;   in Loop: Header=BB0_2 Depth=1
	s_andn2_saveexec_b64 s[2:3], s[30:31]
	s_cbranch_execz .LBB0_6
; %bb.5:                                ;   in Loop: Header=BB0_2 Depth=1
	v_cvt_f32_u32_e32 v1, s28
	s_sub_i32 s30, 0, s28
	v_mov_b32_e32 v85, v2
	v_rcp_iflag_f32_e32 v1, v1
	s_nop 0
	v_mul_f32_e32 v1, 0x4f7ffffe, v1
	v_cvt_u32_f32_e32 v1, v1
	v_mul_lo_u32 v3, s30, v1
	v_mul_hi_u32 v3, v1, v3
	v_add_u32_e32 v1, v1, v3
	v_mul_hi_u32 v1, v6, v1
	v_mul_lo_u32 v3, v1, s28
	v_sub_u32_e32 v3, v6, v3
	v_add_u32_e32 v8, 1, v1
	v_subrev_u32_e32 v9, s28, v3
	v_cmp_le_u32_e32 vcc, s28, v3
	s_nop 1
	v_cndmask_b32_e32 v3, v3, v9, vcc
	v_cndmask_b32_e32 v1, v1, v8, vcc
	v_add_u32_e32 v8, 1, v1
	v_cmp_le_u32_e32 vcc, s28, v3
	s_nop 1
	v_cndmask_b32_e32 v84, v1, v8, vcc
.LBB0_6:                                ;   in Loop: Header=BB0_2 Depth=1
	s_or_b64 exec, exec, s[2:3]
	v_mad_u64_u32 v[8:9], s[2:3], v84, s28, 0
	s_load_dwordx2 s[2:3], s[22:23], 0x0
	v_mul_lo_u32 v1, v85, s28
	v_mul_lo_u32 v3, v84, s29
	s_load_dwordx2 s[28:29], s[20:21], 0x0
	s_add_u32 s26, s26, 1
	v_add3_u32 v1, v9, v3, v1
	v_sub_co_u32_e32 v3, vcc, v6, v8
	s_addc_u32 s27, s27, 0
	s_nop 0
	v_subb_co_u32_e32 v1, vcc, v7, v1, vcc
	s_add_u32 s20, s20, 8
	s_waitcnt lgkmcnt(0)
	v_mul_lo_u32 v6, s2, v1
	v_mul_lo_u32 v7, s3, v3
	v_mad_u64_u32 v[4:5], s[2:3], s2, v3, v[4:5]
	s_addc_u32 s21, s21, 0
	v_add3_u32 v5, v7, v5, v6
	v_mul_lo_u32 v1, s28, v1
	v_mul_lo_u32 v6, s29, v3
	v_mad_u64_u32 v[80:81], s[2:3], s28, v3, v[80:81]
	s_add_u32 s22, s22, 8
	v_add3_u32 v81, v6, v81, v1
	s_addc_u32 s23, s23, 0
	v_mov_b64_e32 v[6:7], s[10:11]
	s_add_u32 s24, s24, 8
	v_cmp_ge_u64_e32 vcc, s[26:27], v[6:7]
	s_addc_u32 s25, s25, 0
	s_cbranch_vccnz .LBB0_9
; %bb.7:                                ;   in Loop: Header=BB0_2 Depth=1
	v_mov_b64_e32 v[6:7], v[84:85]
	s_branch .LBB0_2
.LBB0_8:
	v_mov_b64_e32 v[80:81], v[4:5]
	v_mov_b64_e32 v[84:85], v[6:7]
.LBB0_9:
	s_load_dwordx2 s[0:1], s[0:1], 0x28
	s_lshl_b64 s[10:11], s[10:11], 3
	s_add_u32 s2, s14, s10
	s_addc_u32 s3, s15, s11
	v_and_b32_e32 v82, 15, v0
	s_waitcnt lgkmcnt(0)
	v_cmp_gt_u64_e32 vcc, s[0:1], v[84:85]
	v_cmp_le_u64_e64 s[0:1], s[0:1], v[84:85]
                                        ; implicit-def: $vgpr90
                                        ; implicit-def: $vgpr98
                                        ; implicit-def: $vgpr92
                                        ; implicit-def: $vgpr86
                                        ; implicit-def: $vgpr100
                                        ; implicit-def: $vgpr94
                                        ; implicit-def: $vgpr96
                                        ; implicit-def: $vgpr88
                                        ; implicit-def: $vgpr102
	s_and_saveexec_b64 s[14:15], s[0:1]
	s_xor_b64 s[0:1], exec, s[14:15]
; %bb.10:
	v_and_b32_e32 v82, 15, v0
	v_or_b32_e32 v90, 16, v82
	v_or_b32_e32 v98, 0x50, v82
	;; [unrolled: 1-line block ×9, first 2 shown]
                                        ; implicit-def: $vgpr4_vgpr5
; %bb.11:
	s_or_saveexec_b64 s[0:1], s[0:1]
                                        ; implicit-def: $vgpr46_vgpr47
                                        ; implicit-def: $vgpr66_vgpr67
                                        ; implicit-def: $vgpr50_vgpr51
                                        ; implicit-def: $vgpr70_vgpr71
                                        ; implicit-def: $vgpr54_vgpr55
                                        ; implicit-def: $vgpr2_vgpr3
                                        ; implicit-def: $vgpr10_vgpr11
                                        ; implicit-def: $vgpr26_vgpr27
                                        ; implicit-def: $vgpr14_vgpr15
                                        ; implicit-def: $vgpr38_vgpr39
                                        ; implicit-def: $vgpr22_vgpr23
                                        ; implicit-def: $vgpr34_vgpr35
                                        ; implicit-def: $vgpr18_vgpr19
                                        ; implicit-def: $vgpr30_vgpr31
                                        ; implicit-def: $vgpr6_vgpr7
                                        ; implicit-def: $vgpr78_vgpr79
                                        ; implicit-def: $vgpr62_vgpr63
                                        ; implicit-def: $vgpr74_vgpr75
                                        ; implicit-def: $vgpr58_vgpr59
                                        ; implicit-def: $vgpr42_vgpr43
	s_xor_b64 exec, exec, s[0:1]
	s_cbranch_execz .LBB0_13
; %bb.12:
	s_add_u32 s10, s12, s10
	s_addc_u32 s11, s13, s11
	s_load_dwordx2 s[10:11], s[10:11], 0x0
	v_or_b32_e32 v86, 32, v82
	v_or_b32_e32 v88, 64, v82
	;; [unrolled: 1-line block ×4, first 2 shown]
	s_waitcnt lgkmcnt(0)
	v_mul_lo_u32 v2, s11, v84
	v_mul_lo_u32 v3, s10, v85
	v_mad_u64_u32 v[0:1], s[10:11], s10, v84, 0
	v_add3_u32 v1, v1, v3, v2
	v_mad_u64_u32 v[2:3], s[10:11], s18, v82, 0
	v_mov_b32_e32 v6, v3
	v_lshl_add_u64 v[0:1], v[0:1], 4, s[4:5]
	v_mad_u64_u32 v[6:7], s[10:11], s19, v82, v[6:7]
	v_lshl_add_u64 v[0:1], v[4:5], 4, v[0:1]
	v_mad_u64_u32 v[4:5], s[4:5], s18, v86, 0
	v_mov_b32_e32 v3, v6
	v_mov_b32_e32 v6, v5
	v_mad_u64_u32 v[6:7], s[4:5], s19, v86, v[6:7]
	v_mov_b32_e32 v5, v6
	v_mad_u64_u32 v[6:7], s[4:5], s18, v88, 0
	;; [unrolled: 2-line block ×7, first 2 shown]
	v_or_b32_e32 v15, 0xa0, v82
	v_mov_b32_e32 v11, v12
	v_mad_u64_u32 v[12:13], s[4:5], s18, v15, 0
	v_mov_b32_e32 v14, v13
	v_mad_u64_u32 v[14:15], s[4:5], s19, v15, v[14:15]
	v_or_b32_e32 v17, 0xc0, v82
	v_mov_b32_e32 v13, v14
	v_mad_u64_u32 v[14:15], s[4:5], s18, v17, 0
	v_mov_b32_e32 v16, v15
	v_mad_u64_u32 v[16:17], s[4:5], s19, v17, v[16:17]
	;; [unrolled: 5-line block ×15, first 2 shown]
	v_mov_b32_e32 v41, v42
	v_lshl_add_u64 v[104:105], v[2:3], 4, v[0:1]
	v_lshl_add_u64 v[12:13], v[12:13], 4, v[0:1]
	;; [unrolled: 1-line block ×20, first 2 shown]
	global_load_dwordx4 v[40:43], v[104:105], off
	global_load_dwordx4 v[44:47], v[106:107], off
	;; [unrolled: 1-line block ×15, first 2 shown]
                                        ; kill: killed $vgpr12_vgpr13
                                        ; kill: killed $vgpr110_vgpr111
                                        ; kill: killed $vgpr22_vgpr23
                                        ; kill: killed $vgpr18_vgpr19
                                        ; kill: killed $vgpr104_vgpr105
                                        ; kill: killed $vgpr120_vgpr121
                                        ; kill: killed $vgpr112_vgpr113
                                        ; kill: killed $vgpr114_vgpr115
                                        ; kill: killed $vgpr16_vgpr17
                                        ; kill: killed $vgpr106_vgpr107
                                        ; kill: killed $vgpr116_vgpr117
                                        ; kill: killed $vgpr14_vgpr15
                                        ; kill: killed $vgpr108_vgpr109
                                        ; kill: killed $vgpr20_vgpr21
                                        ; kill: killed $vgpr118_vgpr119
	global_load_dwordx4 v[16:19], v[122:123], off
	global_load_dwordx4 v[32:35], v[124:125], off
	global_load_dwordx4 v[12:15], v[126:127], off
	global_load_dwordx4 v[36:39], v[128:129], off
	global_load_dwordx4 v[20:23], v[130:131], off
.LBB0_13:
	s_or_b64 exec, exec, s[0:1]
	s_waitcnt vmcnt(13)
	v_add_f64 v[106:107], v[68:69], v[72:73]
	s_mov_b32 s12, 0x134454ff
	v_fma_f64 v[106:107], -0.5, v[106:107], v[40:41]
	s_waitcnt vmcnt(11)
	v_add_f64 v[108:109], v[66:67], -v[78:79]
	s_mov_b32 s13, 0x3fee6f0e
	s_mov_b32 s14, 0x4755a5e
	;; [unrolled: 1-line block ×4, first 2 shown]
	v_fma_f64 v[110:111], s[12:13], v[108:109], v[106:107]
	v_add_f64 v[112:113], v[74:75], -v[70:71]
	s_mov_b32 s15, 0x3fe2cf23
	v_add_f64 v[114:115], v[64:65], -v[72:73]
	v_add_f64 v[116:117], v[76:77], -v[68:69]
	s_mov_b32 s0, 0x372fe950
	v_fmac_f64_e32 v[106:107], s[10:11], v[108:109]
	s_mov_b32 s5, 0xbfe2cf23
	s_mov_b32 s4, s14
	v_fmac_f64_e32 v[110:111], s[14:15], v[112:113]
	v_add_f64 v[114:115], v[116:117], v[114:115]
	s_mov_b32 s1, 0x3fd3c6ef
	v_fmac_f64_e32 v[106:107], s[4:5], v[112:113]
	v_fmac_f64_e32 v[110:111], s[0:1], v[114:115]
	;; [unrolled: 1-line block ×3, first 2 shown]
	v_add_f64 v[114:115], v[64:65], v[76:77]
	v_add_f64 v[104:105], v[64:65], v[40:41]
	v_fmac_f64_e32 v[40:41], -0.5, v[114:115]
	v_add_f64 v[104:105], v[72:73], v[104:105]
	v_fma_f64 v[114:115], s[10:11], v[112:113], v[40:41]
	v_add_f64 v[116:117], v[72:73], -v[64:65]
	v_add_f64 v[118:119], v[68:69], -v[76:77]
	v_fmac_f64_e32 v[40:41], s[12:13], v[112:113]
	v_add_f64 v[112:113], v[70:71], v[74:75]
	v_add_f64 v[104:105], v[68:69], v[104:105]
	v_fmac_f64_e32 v[114:115], s[14:15], v[108:109]
	v_add_f64 v[116:117], v[118:119], v[116:117]
	v_fmac_f64_e32 v[40:41], s[4:5], v[108:109]
	v_fma_f64 v[112:113], -0.5, v[112:113], v[42:43]
	v_add_f64 v[64:65], v[64:65], -v[76:77]
	v_add_f64 v[104:105], v[76:77], v[104:105]
	v_fmac_f64_e32 v[114:115], s[0:1], v[116:117]
	v_fmac_f64_e32 v[40:41], s[0:1], v[116:117]
	v_fma_f64 v[116:117], s[10:11], v[64:65], v[112:113]
	v_add_f64 v[68:69], v[72:73], -v[68:69]
	v_add_f64 v[72:73], v[66:67], -v[74:75]
	;; [unrolled: 1-line block ×3, first 2 shown]
	v_fmac_f64_e32 v[112:113], s[12:13], v[64:65]
	v_fmac_f64_e32 v[116:117], s[4:5], v[68:69]
	v_add_f64 v[72:73], v[76:77], v[72:73]
	v_fmac_f64_e32 v[112:113], s[14:15], v[68:69]
	v_fmac_f64_e32 v[116:117], s[0:1], v[72:73]
	;; [unrolled: 1-line block ×3, first 2 shown]
	v_add_f64 v[72:73], v[66:67], v[78:79]
	v_add_f64 v[108:109], v[66:67], v[42:43]
	v_fmac_f64_e32 v[42:43], -0.5, v[72:73]
	v_fma_f64 v[118:119], s[12:13], v[68:69], v[42:43]
	v_fmac_f64_e32 v[42:43], s[10:11], v[68:69]
	v_fmac_f64_e32 v[118:119], s[4:5], v[64:65]
	;; [unrolled: 1-line block ×3, first 2 shown]
	v_add_f64 v[64:65], v[44:45], v[56:57]
	v_add_f64 v[108:109], v[74:75], v[108:109]
	;; [unrolled: 1-line block ×4, first 2 shown]
	v_add_f64 v[66:67], v[74:75], -v[66:67]
	v_add_f64 v[70:71], v[70:71], -v[78:79]
	v_add_f64 v[64:65], v[60:61], v[64:65]
	v_add_f64 v[66:67], v[70:71], v[66:67]
	s_waitcnt vmcnt(10)
	v_add_f64 v[70:71], v[52:53], v[64:65]
	v_add_f64 v[64:65], v[48:49], v[60:61]
	v_fma_f64 v[72:73], -0.5, v[64:65], v[44:45]
	v_add_f64 v[64:65], v[58:59], -v[54:55]
	v_fmac_f64_e32 v[118:119], s[0:1], v[66:67]
	v_fmac_f64_e32 v[42:43], s[0:1], v[66:67]
	v_fma_f64 v[74:75], s[12:13], v[64:65], v[72:73]
	v_add_f64 v[66:67], v[50:51], -v[62:63]
	v_add_f64 v[68:69], v[56:57], -v[48:49]
	;; [unrolled: 1-line block ×3, first 2 shown]
	v_fmac_f64_e32 v[72:73], s[10:11], v[64:65]
	v_fmac_f64_e32 v[74:75], s[14:15], v[66:67]
	v_add_f64 v[68:69], v[76:77], v[68:69]
	v_fmac_f64_e32 v[72:73], s[4:5], v[66:67]
	v_fmac_f64_e32 v[74:75], s[0:1], v[68:69]
	;; [unrolled: 1-line block ×3, first 2 shown]
	v_add_f64 v[68:69], v[52:53], v[56:57]
	v_fmac_f64_e32 v[44:45], -0.5, v[68:69]
	v_fma_f64 v[76:77], s[10:11], v[66:67], v[44:45]
	v_fmac_f64_e32 v[44:45], s[12:13], v[66:67]
	v_fmac_f64_e32 v[76:77], s[14:15], v[64:65]
	v_fmac_f64_e32 v[44:45], s[4:5], v[64:65]
	v_add_f64 v[64:65], v[46:47], v[58:59]
	v_add_f64 v[64:65], v[50:51], v[64:65]
	;; [unrolled: 1-line block ×4, first 2 shown]
	v_add_f64 v[68:69], v[48:49], -v[56:57]
	v_add_f64 v[78:79], v[60:61], -v[52:53]
	v_add_f64 v[120:121], v[54:55], v[64:65]
	v_add_f64 v[64:65], v[50:51], v[62:63]
	;; [unrolled: 1-line block ×3, first 2 shown]
	v_fma_f64 v[78:79], -0.5, v[64:65], v[46:47]
	v_add_f64 v[52:53], v[56:57], -v[52:53]
	v_fma_f64 v[56:57], s[10:11], v[52:53], v[78:79]
	v_add_f64 v[48:49], v[48:49], -v[60:61]
	v_add_f64 v[60:61], v[58:59], -v[50:51]
	;; [unrolled: 1-line block ×3, first 2 shown]
	v_fmac_f64_e32 v[78:79], s[12:13], v[52:53]
	v_fmac_f64_e32 v[56:57], s[4:5], v[48:49]
	v_add_f64 v[60:61], v[64:65], v[60:61]
	v_fmac_f64_e32 v[78:79], s[14:15], v[48:49]
	v_fmac_f64_e32 v[56:57], s[0:1], v[60:61]
	;; [unrolled: 1-line block ×3, first 2 shown]
	v_add_f64 v[60:61], v[54:55], v[58:59]
	v_fmac_f64_e32 v[46:47], -0.5, v[60:61]
	v_fma_f64 v[122:123], s[12:13], v[48:49], v[46:47]
	v_add_f64 v[50:51], v[50:51], -v[58:59]
	v_add_f64 v[54:55], v[62:63], -v[54:55]
	v_fmac_f64_e32 v[46:47], s[10:11], v[48:49]
	v_fmac_f64_e32 v[44:45], s[0:1], v[68:69]
	v_add_f64 v[50:51], v[54:55], v[50:51]
	v_fmac_f64_e32 v[46:47], s[14:15], v[52:53]
	s_mov_b32 s18, 0x9b97f4a8
	v_fmac_f64_e32 v[76:77], s[0:1], v[68:69]
	v_fmac_f64_e32 v[122:123], s[4:5], v[52:53]
	;; [unrolled: 1-line block ×3, first 2 shown]
	v_add_f64 v[60:61], v[70:71], v[104:105]
	s_mov_b32 s19, 0x3fe9e377
	v_mul_f64 v[48:49], v[44:45], s[0:1]
	v_add_f64 v[70:71], v[104:105], -v[70:71]
	s_waitcnt vmcnt(7)
	v_add_f64 v[104:105], v[0:1], v[28:29]
	v_fmac_f64_e32 v[122:123], s[0:1], v[50:51]
	v_mul_f64 v[58:59], v[76:77], s[0:1]
	v_fma_f64 v[124:125], v[46:47], s[12:13], -v[48:49]
	v_mul_f64 v[130:131], v[76:77], s[10:11]
	v_mul_f64 v[46:47], v[46:47], s[0:1]
	;; [unrolled: 1-line block ×3, first 2 shown]
	s_waitcnt vmcnt(5)
	v_add_f64 v[104:105], v[24:25], v[104:105]
	v_fmac_f64_e32 v[58:59], s[12:13], v[122:123]
	v_fmac_f64_e32 v[130:131], s[0:1], v[122:123]
	v_fma_f64 v[122:123], v[44:45], s[10:11], -v[46:47]
	v_fma_f64 v[132:133], v[72:73], s[4:5], -v[52:53]
	s_waitcnt vmcnt(3)
	v_add_f64 v[104:105], v[32:33], v[104:105]
	v_mul_f64 v[54:55], v[56:57], s[14:15]
	v_add_f64 v[66:67], v[40:41], v[124:125]
	v_mul_f64 v[48:49], v[72:73], s[18:19]
	v_mul_f64 v[128:129], v[74:75], s[4:5]
	v_add_f64 v[46:47], v[42:43], v[122:123]
	v_add_f64 v[52:53], v[112:113], v[132:133]
	v_add_f64 v[76:77], v[40:41], -v[124:125]
	v_add_f64 v[40:41], v[42:43], -v[122:123]
	;; [unrolled: 1-line block ×3, first 2 shown]
	s_waitcnt vmcnt(1)
	v_add_f64 v[112:113], v[36:37], v[104:105]
	v_add_f64 v[104:105], v[24:25], v[32:33]
	v_fmac_f64_e32 v[54:55], s[18:19], v[74:75]
	v_add_f64 v[64:65], v[114:115], v[58:59]
	v_fma_f64 v[126:127], v[78:79], s[14:15], -v[48:49]
	v_fmac_f64_e32 v[128:129], s[18:19], v[56:57]
	v_add_f64 v[74:75], v[114:115], -v[58:59]
	v_fma_f64 v[114:115], -0.5, v[104:105], v[0:1]
	v_add_f64 v[104:105], v[30:31], -v[38:39]
	v_add_f64 v[62:63], v[110:111], v[54:55]
	v_add_f64 v[68:69], v[106:107], v[126:127]
	;; [unrolled: 1-line block ×4, first 2 shown]
	v_add_f64 v[72:73], v[110:111], -v[54:55]
	v_add_f64 v[78:79], v[106:107], -v[126:127]
	;; [unrolled: 1-line block ×4, first 2 shown]
	v_fma_f64 v[116:117], s[12:13], v[104:105], v[114:115]
	v_add_f64 v[106:107], v[26:27], -v[34:35]
	v_add_f64 v[108:109], v[28:29], -v[24:25]
	;; [unrolled: 1-line block ×3, first 2 shown]
	v_fmac_f64_e32 v[114:115], s[10:11], v[104:105]
	v_fmac_f64_e32 v[116:117], s[14:15], v[106:107]
	v_add_f64 v[108:109], v[110:111], v[108:109]
	v_fmac_f64_e32 v[114:115], s[4:5], v[106:107]
	v_fmac_f64_e32 v[116:117], s[0:1], v[108:109]
	v_fmac_f64_e32 v[114:115], s[0:1], v[108:109]
	v_add_f64 v[108:109], v[36:37], v[28:29]
	v_fmac_f64_e32 v[0:1], -0.5, v[108:109]
	v_add_f64 v[44:45], v[118:119], v[130:131]
	v_add_f64 v[58:59], v[118:119], -v[130:131]
	v_fma_f64 v[118:119], s[10:11], v[106:107], v[0:1]
	v_fmac_f64_e32 v[0:1], s[12:13], v[106:107]
	v_fmac_f64_e32 v[118:119], s[14:15], v[104:105]
	;; [unrolled: 1-line block ×3, first 2 shown]
	v_add_f64 v[104:105], v[2:3], v[30:31]
	v_add_f64 v[104:105], v[26:27], v[104:105]
	v_add_f64 v[104:105], v[34:35], v[104:105]
	v_add_f64 v[120:121], v[38:39], v[104:105]
	v_add_f64 v[104:105], v[26:27], v[34:35]
	v_add_f64 v[108:109], v[24:25], -v[28:29]
	v_fma_f64 v[122:123], -0.5, v[104:105], v[2:3]
	v_add_f64 v[28:29], v[28:29], -v[36:37]
	v_add_f64 v[110:111], v[32:33], -v[36:37]
	v_fma_f64 v[36:37], s[10:11], v[28:29], v[122:123]
	v_add_f64 v[24:25], v[24:25], -v[32:33]
	v_add_f64 v[32:33], v[30:31], -v[26:27]
	;; [unrolled: 1-line block ×3, first 2 shown]
	v_fmac_f64_e32 v[122:123], s[12:13], v[28:29]
	v_fmac_f64_e32 v[36:37], s[4:5], v[24:25]
	v_add_f64 v[32:33], v[104:105], v[32:33]
	v_fmac_f64_e32 v[122:123], s[14:15], v[24:25]
	v_fmac_f64_e32 v[36:37], s[0:1], v[32:33]
	;; [unrolled: 1-line block ×3, first 2 shown]
	v_add_f64 v[32:33], v[38:39], v[30:31]
	v_fmac_f64_e32 v[2:3], -0.5, v[32:33]
	v_fma_f64 v[32:33], s[12:13], v[24:25], v[2:3]
	v_add_f64 v[26:27], v[26:27], -v[30:31]
	v_add_f64 v[30:31], v[34:35], -v[38:39]
	v_fmac_f64_e32 v[2:3], s[10:11], v[24:25]
	v_fmac_f64_e32 v[32:33], s[4:5], v[28:29]
	v_add_f64 v[26:27], v[30:31], v[26:27]
	v_fmac_f64_e32 v[2:3], s[14:15], v[28:29]
	v_fmac_f64_e32 v[32:33], s[0:1], v[26:27]
	;; [unrolled: 1-line block ×3, first 2 shown]
	v_add_f64 v[26:27], v[12:13], v[16:17]
	v_fma_f64 v[26:27], -0.5, v[26:27], v[4:5]
	s_waitcnt vmcnt(0)
	v_add_f64 v[28:29], v[10:11], -v[22:23]
	v_fma_f64 v[30:31], s[12:13], v[28:29], v[26:27]
	v_add_f64 v[34:35], v[18:19], -v[14:15]
	v_add_f64 v[38:39], v[8:9], -v[16:17]
	;; [unrolled: 1-line block ×3, first 2 shown]
	v_fmac_f64_e32 v[26:27], s[10:11], v[28:29]
	v_fmac_f64_e32 v[30:31], s[14:15], v[34:35]
	v_add_f64 v[38:39], v[104:105], v[38:39]
	v_fmac_f64_e32 v[26:27], s[4:5], v[34:35]
	v_fmac_f64_e32 v[30:31], s[0:1], v[38:39]
	;; [unrolled: 1-line block ×3, first 2 shown]
	v_add_f64 v[38:39], v[8:9], v[20:21]
	v_add_f64 v[24:25], v[8:9], v[4:5]
	v_fmac_f64_e32 v[4:5], -0.5, v[38:39]
	v_add_f64 v[24:25], v[16:17], v[24:25]
	v_fma_f64 v[38:39], s[10:11], v[34:35], v[4:5]
	v_add_f64 v[104:105], v[16:17], -v[8:9]
	v_add_f64 v[106:107], v[12:13], -v[20:21]
	v_fmac_f64_e32 v[4:5], s[12:13], v[34:35]
	v_add_f64 v[34:35], v[14:15], v[18:19]
	v_add_f64 v[24:25], v[12:13], v[24:25]
	v_fmac_f64_e32 v[38:39], s[14:15], v[28:29]
	v_add_f64 v[104:105], v[106:107], v[104:105]
	v_fmac_f64_e32 v[4:5], s[4:5], v[28:29]
	v_fma_f64 v[34:35], -0.5, v[34:35], v[6:7]
	v_add_f64 v[8:9], v[8:9], -v[20:21]
	v_add_f64 v[24:25], v[20:21], v[24:25]
	v_fmac_f64_e32 v[38:39], s[0:1], v[104:105]
	v_fmac_f64_e32 v[4:5], s[0:1], v[104:105]
	v_fma_f64 v[20:21], s[10:11], v[8:9], v[34:35]
	v_add_f64 v[12:13], v[16:17], -v[12:13]
	v_add_f64 v[16:17], v[10:11], -v[18:19]
	;; [unrolled: 1-line block ×3, first 2 shown]
	v_fmac_f64_e32 v[34:35], s[12:13], v[8:9]
	v_fmac_f64_e32 v[20:21], s[4:5], v[12:13]
	v_add_f64 v[16:17], v[104:105], v[16:17]
	v_fmac_f64_e32 v[34:35], s[14:15], v[12:13]
	v_add_f64 v[28:29], v[10:11], v[6:7]
	v_fmac_f64_e32 v[20:21], s[0:1], v[16:17]
	v_fmac_f64_e32 v[34:35], s[0:1], v[16:17]
	v_add_f64 v[16:17], v[10:11], v[22:23]
	v_add_f64 v[108:109], v[110:111], v[108:109]
	;; [unrolled: 1-line block ×3, first 2 shown]
	v_fmac_f64_e32 v[6:7], -0.5, v[16:17]
	v_fmac_f64_e32 v[118:119], s[0:1], v[108:109]
	v_fmac_f64_e32 v[0:1], s[0:1], v[108:109]
	v_add_f64 v[28:29], v[14:15], v[28:29]
	v_fma_f64 v[108:109], s[12:13], v[12:13], v[6:7]
	v_add_f64 v[10:11], v[18:19], -v[10:11]
	v_add_f64 v[14:15], v[14:15], -v[22:23]
	v_fmac_f64_e32 v[6:7], s[10:11], v[12:13]
	v_add_f64 v[10:11], v[14:15], v[10:11]
	v_fmac_f64_e32 v[6:7], s[14:15], v[8:9]
	v_mul_u32_u24_e32 v83, 0x140, v83
	v_fmac_f64_e32 v[6:7], s[0:1], v[10:11]
	v_mul_f64 v[14:15], v[4:5], s[0:1]
	v_add_f64 v[28:29], v[22:23], v[28:29]
	v_mul_f64 v[22:23], v[30:31], s[18:19]
	v_fma_f64 v[126:127], v[6:7], s[12:13], -v[14:15]
	v_mul_f64 v[30:31], v[30:31], s[4:5]
	v_lshlrev_b32_e32 v83, 3, v83
	v_fmac_f64_e32 v[108:109], s[4:5], v[8:9]
	v_add_f64 v[8:9], v[112:113], v[24:25]
	v_fmac_f64_e32 v[22:23], s[14:15], v[20:21]
	v_add_f64 v[14:15], v[0:1], v[126:127]
	v_mul_f64 v[16:17], v[26:27], s[18:19]
	v_fmac_f64_e32 v[30:31], s[18:19], v[20:21]
	v_add_f64 v[18:19], v[112:113], -v[24:25]
	v_add_f64 v[20:21], v[0:1], -v[126:127]
	v_mul_u32_u24_e32 v0, 10, v82
	v_add_u32_e32 v24, 0, v83
	v_fmac_f64_e32 v[108:109], s[0:1], v[10:11]
	v_mul_f64 v[124:125], v[38:39], s[0:1]
	v_fma_f64 v[128:129], v[34:35], s[14:15], -v[16:17]
	v_mul_f64 v[38:39], v[38:39], s[10:11]
	v_mul_f64 v[6:7], v[6:7], s[0:1]
	v_lshl_add_u32 v25, v0, 3, v24
	v_mul_i32_i24_e32 v0, 10, v90
	s_load_dwordx2 s[2:3], s[2:3], 0x0
	v_add_f64 v[10:11], v[116:117], v[22:23]
	v_fmac_f64_e32 v[124:125], s[12:13], v[108:109]
	v_add_f64 v[16:17], v[114:115], v[128:129]
	v_fmac_f64_e32 v[38:39], s[0:1], v[108:109]
	v_fma_f64 v[130:131], v[4:5], s[10:11], -v[6:7]
	v_mul_f64 v[4:5], v[34:35], s[18:19]
	ds_write_b128 v25, v[60:63]
	ds_write_b128 v25, v[64:67] offset:16
	ds_write_b128 v25, v[68:71] offset:32
	;; [unrolled: 1-line block ×4, first 2 shown]
	v_lshl_add_u32 v78, v0, 3, v24
	s_movk_i32 s0, 0xffb8
	v_add_f64 v[12:13], v[118:119], v[124:125]
	v_fma_f64 v[26:27], v[26:27], s[4:5], -v[4:5]
	v_add_f64 v[4:5], v[116:117], -v[22:23]
	v_add_f64 v[6:7], v[118:119], -v[124:125]
	;; [unrolled: 1-line block ×3, first 2 shown]
	ds_write_b128 v78, v[8:11]
	ds_write_b128 v78, v[12:15] offset:16
	ds_write_b128 v78, v[16:19] offset:32
	;; [unrolled: 1-line block ×4, first 2 shown]
	v_lshlrev_b32_e32 v0, 3, v82
	v_mad_i32_i24 v65, v90, s0, v78
	v_add_u32_e32 v16, -10, v82
	v_cmp_gt_u32_e64 s[0:1], 10, v82
	v_add3_u32 v62, 0, v0, v83
	v_add_u32_e32 v63, v24, v0
	v_cndmask_b32_e64 v87, v16, v82, s[0:1]
	s_movk_i32 s0, 0xcd
	v_add_u32_e32 v73, 0x800, v62
	v_lshl_add_u32 v67, v86, 3, v24
	v_lshl_add_u32 v71, v88, 3, v24
	v_mul_lo_u16_sdwa v16, v90, s0 dst_sel:DWORD dst_unused:UNUSED_PAD src0_sel:BYTE_0 src1_sel:DWORD
	v_add_f64 v[104:105], v[120:121], v[28:29]
	v_add_f64 v[106:107], v[36:37], v[30:31]
	;; [unrolled: 1-line block ×5, first 2 shown]
	v_add_f64 v[114:115], v[120:121], -v[28:29]
	v_add_f64 v[116:117], v[36:37], -v[30:31]
	;; [unrolled: 1-line block ×5, first 2 shown]
	s_waitcnt lgkmcnt(0)
	; wave barrier
	s_waitcnt lgkmcnt(0)
	v_lshl_add_u32 v64, v98, 3, v24
	ds_read2_b64 v[74:77], v62 offset0:160 offset1:176
	ds_read2_b64 v[4:7], v62 offset0:224 offset1:240
	v_lshl_add_u32 v66, v92, 3, v24
	ds_read_b64 v[30:31], v63
	ds_read_b64 v[34:35], v64
	;; [unrolled: 1-line block ×4, first 2 shown]
	ds_read2_b64 v[12:15], v73 offset1:16
	v_lshl_add_u32 v68, v100, 3, v24
	ds_read2_b64 v[8:11], v62 offset0:192 offset1:208
	v_lshl_add_u32 v69, v94, 3, v24
	v_lshl_add_u32 v70, v96, 3, v24
	ds_read_b64 v[26:27], v67
	ds_read_b64 v[60:61], v68
	;; [unrolled: 1-line block ×4, first 2 shown]
	ds_read2_b64 v[0:3], v73 offset0:32 offset1:48
	v_lshl_add_u32 v72, v102, 3, v24
	ds_read_b64 v[20:21], v71
	ds_read_b64 v[38:39], v72
	s_waitcnt lgkmcnt(0)
	; wave barrier
	s_waitcnt lgkmcnt(0)
	ds_write_b128 v25, v[48:51]
	ds_write_b128 v25, v[44:47] offset:16
	ds_write_b128 v25, v[52:55] offset:32
	;; [unrolled: 1-line block ×4, first 2 shown]
	ds_write_b128 v78, v[104:107]
	ds_write_b128 v78, v[108:111] offset:16
	ds_write_b128 v78, v[112:115] offset:32
	;; [unrolled: 1-line block ×4, first 2 shown]
	v_lshrrev_b16_e32 v56, 11, v16
	v_mul_i32_i24_e32 v24, 3, v87
	v_mov_b32_e32 v25, 0
	v_mul_lo_u16_e32 v16, 10, v56
	v_lshl_add_u64 v[78:79], v[24:25], 4, s[8:9]
	v_sub_u16_e32 v57, v90, v16
	v_mov_b32_e32 v24, 3
	s_waitcnt lgkmcnt(0)
	; wave barrier
	s_waitcnt lgkmcnt(0)
	global_load_dwordx4 v[40:43], v[78:79], off offset:16
	v_mul_u32_u24_sdwa v16, v57, v24 dst_sel:DWORD dst_unused:UNUSED_PAD src0_sel:BYTE_0 src1_sel:DWORD
	v_lshlrev_b32_e32 v89, 4, v16
	global_load_dwordx4 v[48:51], v89, s[8:9] offset:16
	global_load_dwordx4 v[104:107], v89, s[8:9] offset:32
	v_mul_lo_u16_sdwa v16, v86, s0 dst_sel:DWORD dst_unused:UNUSED_PAD src0_sel:BYTE_0 src1_sel:DWORD
	v_lshrrev_b16_e32 v58, 11, v16
	v_mul_lo_u16_e32 v16, 10, v58
	v_sub_u16_e32 v59, v86, v16
	v_mul_u32_u24_sdwa v16, v59, v24 dst_sel:DWORD dst_unused:UNUSED_PAD src0_sel:BYTE_0 src1_sel:DWORD
	v_lshlrev_b32_e32 v52, 4, v16
	global_load_dwordx4 v[108:111], v52, s[8:9] offset:32
	global_load_dwordx4 v[112:115], v52, s[8:9] offset:16
	ds_read2_b64 v[116:119], v62 offset0:160 offset1:176
	ds_read2_b64 v[120:123], v73 offset1:16
	ds_read2_b64 v[124:127], v62 offset0:192 offset1:208
	global_load_dwordx4 v[16:19], v[78:79], off
	v_lshlrev_b32_e32 v87, 3, v87
	s_movk_i32 s4, 0x140
	s_waitcnt vmcnt(5) lgkmcnt(2)
	v_mul_f64 v[44:45], v[116:117], v[42:43]
	v_mul_f64 v[46:47], v[74:75], v[42:43]
	v_fma_f64 v[54:55], v[74:75], v[40:41], -v[44:45]
	v_fmac_f64_e32 v[46:47], v[116:117], v[40:41]
	s_waitcnt vmcnt(4)
	v_mul_f64 v[40:41], v[118:119], v[50:51]
	v_mul_f64 v[42:43], v[76:77], v[50:51]
	v_fma_f64 v[40:41], v[76:77], v[48:49], -v[40:41]
	v_fmac_f64_e32 v[42:43], v[118:119], v[48:49]
	v_mul_lo_u16_sdwa v48, v94, s0 dst_sel:DWORD dst_unused:UNUSED_PAD src0_sel:BYTE_0 src1_sel:DWORD
	v_lshrrev_b16_e32 v91, 11, v48
	v_mul_lo_u16_e32 v48, 10, v91
	v_sub_u16_e32 v93, v94, v48
	s_waitcnt vmcnt(3) lgkmcnt(1)
	v_mul_f64 v[44:45], v[120:121], v[106:107]
	v_mul_u32_u24_sdwa v48, v93, v24 dst_sel:DWORD dst_unused:UNUSED_PAD src0_sel:BYTE_0 src1_sel:DWORD
	v_fma_f64 v[44:45], v[12:13], v[104:105], -v[44:45]
	v_mul_f64 v[12:13], v[12:13], v[106:107]
	v_lshlrev_b32_e32 v95, 4, v48
	v_fmac_f64_e32 v[12:13], v[120:121], v[104:105]
	global_load_dwordx4 v[74:77], v95, s[8:9]
	global_load_dwordx4 v[104:107], v95, s[8:9] offset:16
	s_waitcnt vmcnt(4)
	v_mul_f64 v[48:49], v[122:123], v[110:111]
	v_fma_f64 v[48:49], v[14:15], v[108:109], -v[48:49]
	v_mul_f64 v[14:15], v[14:15], v[110:111]
	v_fmac_f64_e32 v[14:15], v[122:123], v[108:109]
	global_load_dwordx4 v[108:111], v52, s[8:9]
	global_load_dwordx4 v[116:119], v89, s[8:9]
	s_waitcnt vmcnt(5) lgkmcnt(0)
	v_mul_f64 v[50:51], v[124:125], v[114:115]
	v_mul_f64 v[52:53], v[8:9], v[114:115]
	v_fma_f64 v[50:51], v[8:9], v[112:113], -v[50:51]
	v_fmac_f64_e32 v[52:53], v[124:125], v[112:113]
	global_load_dwordx4 v[112:115], v[78:79], off offset:32
	v_add_f64 v[54:55], v[30:31], -v[54:55]
	v_fma_f64 v[30:31], v[30:31], 2.0, -v[54:55]
	s_waitcnt vmcnt(3)
	v_mul_f64 v[8:9], v[126:127], v[106:107]
	v_fma_f64 v[8:9], v[10:11], v[104:105], -v[8:9]
	v_mul_f64 v[10:11], v[10:11], v[106:107]
	v_fmac_f64_e32 v[10:11], v[126:127], v[104:105]
	ds_read2_b64 v[104:107], v62 offset0:224 offset1:240
	v_add_f64 v[8:9], v[22:23], -v[8:9]
	v_fma_f64 v[22:23], v[22:23], 2.0, -v[8:9]
	s_waitcnt vmcnt(0) lgkmcnt(0)
	v_mul_f64 v[78:79], v[106:107], v[114:115]
	v_fma_f64 v[78:79], v[6:7], v[112:113], -v[78:79]
	v_mul_f64 v[124:125], v[6:7], v[114:115]
	v_mul_lo_u16_sdwa v6, v88, s0 dst_sel:DWORD dst_unused:UNUSED_PAD src0_sel:BYTE_0 src1_sel:DWORD
	v_lshrrev_b16_e32 v89, 11, v6
	v_mul_lo_u16_e32 v6, 10, v89
	v_sub_u16_e32 v97, v88, v6
	v_mul_u32_u24_sdwa v6, v97, v24 dst_sel:DWORD dst_unused:UNUSED_PAD src0_sel:BYTE_0 src1_sel:DWORD
	v_lshlrev_b32_e32 v99, 4, v6
	v_fmac_f64_e32 v[124:125], v[106:107], v[112:113]
	global_load_dwordx4 v[112:115], v99, s[8:9] offset:16
	global_load_dwordx4 v[120:123], v99, s[8:9]
	v_cmp_lt_u32_e64 s[0:1], 9, v82
	s_waitcnt vmcnt(1)
	v_mul_f64 v[6:7], v[104:105], v[114:115]
	v_fma_f64 v[6:7], v[4:5], v[112:113], -v[6:7]
	v_mul_f64 v[4:5], v[4:5], v[114:115]
	v_fmac_f64_e32 v[4:5], v[104:105], v[112:113]
	global_load_dwordx4 v[104:107], v95, s[8:9] offset:32
	ds_read2_b64 v[112:115], v73 offset0:32 offset1:48
	v_mov_b32_e32 v95, 0x140
	v_cndmask_b32_e64 v95, 0, v95, s[0:1]
	v_add_u32_e32 v95, 0, v95
	v_add3_u32 v87, v95, v87, v83
	v_add_f64 v[6:7], v[20:21], -v[6:7]
	v_cmp_gt_u32_e64 s[0:1], 40, v86
	s_waitcnt vmcnt(0) lgkmcnt(0)
	v_mul_f64 v[126:127], v[112:113], v[106:107]
	v_mul_f64 v[128:129], v[0:1], v[106:107]
	v_fma_f64 v[126:127], v[0:1], v[104:105], -v[126:127]
	v_fmac_f64_e32 v[128:129], v[112:113], v[104:105]
	global_load_dwordx4 v[104:107], v99, s[8:9] offset:32
	s_waitcnt vmcnt(0)
	v_mul_f64 v[0:1], v[114:115], v[106:107]
	v_fma_f64 v[0:1], v[2:3], v[104:105], -v[0:1]
	v_mul_f64 v[2:3], v[2:3], v[106:107]
	v_fmac_f64_e32 v[2:3], v[114:115], v[104:105]
	ds_read_b64 v[104:105], v64
	ds_read_b64 v[106:107], v65
	;; [unrolled: 1-line block ×3, first 2 shown]
	s_waitcnt lgkmcnt(2)
	v_mul_f64 v[114:115], v[104:105], v[18:19]
	v_mul_f64 v[18:19], v[34:35], v[18:19]
	v_fma_f64 v[114:115], v[34:35], v[16:17], -v[114:115]
	v_fmac_f64_e32 v[18:19], v[104:105], v[16:17]
	s_waitcnt lgkmcnt(0)
	v_mul_f64 v[16:17], v[112:113], v[118:119]
	v_fma_f64 v[16:17], v[32:33], v[116:117], -v[16:17]
	v_mul_f64 v[32:33], v[32:33], v[118:119]
	v_fmac_f64_e32 v[32:33], v[112:113], v[116:117]
	ds_read_b64 v[34:35], v68
	ds_read_b64 v[104:105], v69
	;; [unrolled: 1-line block ×3, first 2 shown]
	v_add_f64 v[78:79], v[114:115], -v[78:79]
	v_add_f64 v[12:13], v[32:33], -v[12:13]
	s_waitcnt lgkmcnt(2)
	v_mul_f64 v[116:117], v[34:35], v[110:111]
	v_fma_f64 v[116:117], v[60:61], v[108:109], -v[116:117]
	v_mul_f64 v[60:61], v[60:61], v[110:111]
	v_fmac_f64_e32 v[60:61], v[34:35], v[108:109]
	s_waitcnt lgkmcnt(0)
	v_mul_f64 v[34:35], v[112:113], v[76:77]
	v_fma_f64 v[34:35], v[36:37], v[74:75], -v[34:35]
	v_mul_f64 v[36:37], v[36:37], v[76:77]
	v_fmac_f64_e32 v[36:37], v[112:113], v[74:75]
	ds_read_b64 v[74:75], v72
	v_add_f64 v[108:109], v[18:19], -v[124:125]
	v_fma_f64 v[110:111], v[114:115], 2.0, -v[78:79]
	v_add_f64 v[110:111], v[30:31], -v[110:111]
	v_add_f64 v[112:113], v[54:55], -v[108:109]
	s_waitcnt lgkmcnt(0)
	v_mul_f64 v[76:77], v[74:75], v[122:123]
	v_fma_f64 v[76:77], v[38:39], v[120:121], -v[76:77]
	v_mul_f64 v[38:39], v[38:39], v[122:123]
	v_fmac_f64_e32 v[38:39], v[74:75], v[120:121]
	ds_read_b64 v[74:75], v63
	v_fma_f64 v[30:31], v[30:31], 2.0, -v[110:111]
	v_fma_f64 v[54:55], v[54:55], 2.0, -v[112:113]
	ds_read_b64 v[114:115], v67
	ds_read_b64 v[118:119], v71
	s_waitcnt lgkmcnt(0)
	; wave barrier
	s_waitcnt lgkmcnt(0)
	ds_write2_b64 v87, v[30:31], v[54:55] offset1:10
	v_add_f64 v[30:31], v[74:75], -v[46:47]
	v_fma_f64 v[46:47], v[74:75], 2.0, -v[30:31]
	v_add_f64 v[74:75], v[30:31], v[78:79]
	v_fma_f64 v[18:19], v[18:19], 2.0, -v[108:109]
	v_fma_f64 v[78:79], v[30:31], 2.0, -v[74:75]
	v_add_f64 v[30:31], v[106:107], -v[42:43]
	v_add_f64 v[54:55], v[46:47], -v[18:19]
	;; [unrolled: 1-line block ×3, first 2 shown]
	v_fma_f64 v[40:41], v[106:107], 2.0, -v[30:31]
	v_fma_f64 v[32:33], v[32:33], 2.0, -v[12:13]
	v_add_f64 v[42:43], v[16:17], -v[44:45]
	v_add_f64 v[32:33], v[40:41], -v[32:33]
	v_fma_f64 v[106:107], v[40:41], 2.0, -v[32:33]
	v_add_f64 v[108:109], v[30:31], v[42:43]
	v_add_f64 v[40:41], v[114:115], -v[52:53]
	v_add_f64 v[14:15], v[60:61], -v[14:15]
	v_fma_f64 v[16:17], v[16:17], 2.0, -v[42:43]
	v_fma_f64 v[120:121], v[30:31], 2.0, -v[108:109]
	v_add_f64 v[30:31], v[26:27], -v[50:51]
	v_fma_f64 v[42:43], v[114:115], 2.0, -v[40:41]
	v_fma_f64 v[50:51], v[60:61], 2.0, -v[14:15]
	v_add_f64 v[50:51], v[42:43], -v[50:51]
	v_add_f64 v[44:45], v[116:117], -v[48:49]
	v_fma_f64 v[52:53], v[42:43], 2.0, -v[50:51]
	v_add_f64 v[10:11], v[104:105], -v[10:11]
	v_add_f64 v[42:43], v[34:35], -v[126:127]
	v_add_f64 v[4:5], v[118:119], -v[4:5]
	v_add_f64 v[0:1], v[76:77], -v[0:1]
	v_fma_f64 v[48:49], v[116:117], 2.0, -v[44:45]
	v_add_f64 v[60:61], v[40:41], v[44:45]
	v_add_f64 v[116:117], v[10:11], v[42:43]
	;; [unrolled: 1-line block ×3, first 2 shown]
	v_fma_f64 v[28:29], v[28:29], 2.0, -v[18:19]
	v_fma_f64 v[26:27], v[26:27], 2.0, -v[30:31]
	;; [unrolled: 1-line block ×4, first 2 shown]
	v_add_f64 v[44:45], v[36:37], -v[128:129]
	v_fma_f64 v[122:123], v[10:11], 2.0, -v[116:117]
	v_fma_f64 v[10:11], v[20:21], 2.0, -v[6:7]
	;; [unrolled: 1-line block ×4, first 2 shown]
	v_mad_u32_u24 v4, v56, s4, 0
	v_lshlrev_b32_sdwa v5, v24, v57 dst_sel:DWORD dst_unused:UNUSED_PAD src0_sel:DWORD src1_sel:BYTE_0
	v_add_f64 v[16:17], v[28:29], -v[16:17]
	v_add_f64 v[12:13], v[18:19], -v[12:13]
	;; [unrolled: 1-line block ×4, first 2 shown]
	v_fma_f64 v[36:37], v[36:37], 2.0, -v[44:45]
	v_add3_u32 v56, v4, v5, v83
	v_mad_u32_u24 v4, v58, s4, 0
	v_lshlrev_b32_sdwa v5, v24, v59 dst_sel:DWORD dst_unused:UNUSED_PAD src0_sel:DWORD src1_sel:BYTE_0
	v_fma_f64 v[28:29], v[28:29], 2.0, -v[16:17]
	v_fma_f64 v[18:19], v[18:19], 2.0, -v[12:13]
	;; [unrolled: 1-line block ×5, first 2 shown]
	v_add_f64 v[36:37], v[40:41], -v[36:37]
	v_add_f64 v[2:3], v[38:39], -v[2:3]
	v_fma_f64 v[42:43], v[76:77], 2.0, -v[0:1]
	v_add3_u32 v57, v4, v5, v83
	v_mad_u32_u24 v4, v91, s4, 0
	v_lshlrev_b32_sdwa v5, v24, v93 dst_sel:DWORD dst_unused:UNUSED_PAD src0_sel:DWORD src1_sel:BYTE_0
	v_add_f64 v[34:35], v[22:23], -v[34:35]
	v_fma_f64 v[104:105], v[40:41], 2.0, -v[36:37]
	v_add_f64 v[40:41], v[8:9], -v[44:45]
	v_fma_f64 v[38:39], v[38:39], 2.0, -v[2:3]
	v_add_f64 v[42:43], v[10:11], -v[42:43]
	v_add_f64 v[2:3], v[6:7], -v[2:3]
	ds_write2_b64 v87, v[110:111], v[112:113] offset0:20 offset1:30
	ds_write2_b64 v56, v[28:29], v[18:19] offset1:10
	ds_write2_b64 v56, v[16:17], v[12:13] offset0:20 offset1:30
	ds_write2_b64 v57, v[26:27], v[30:31] offset1:10
	ds_write2_b64 v57, v[48:49], v[14:15] offset0:20 offset1:30
	v_add3_u32 v48, v4, v5, v83
	v_mad_u32_u24 v4, v89, s4, 0
	v_lshlrev_b32_sdwa v5, v24, v97 dst_sel:DWORD dst_unused:UNUSED_PAD src0_sel:DWORD src1_sel:BYTE_0
	v_fma_f64 v[46:47], v[46:47], 2.0, -v[54:55]
	v_fma_f64 v[22:23], v[22:23], 2.0, -v[34:35]
	;; [unrolled: 1-line block ×3, first 2 shown]
	v_add_f64 v[76:77], v[20:21], -v[38:39]
	v_fma_f64 v[10:11], v[10:11], 2.0, -v[42:43]
	v_fma_f64 v[0:1], v[6:7], 2.0, -v[2:3]
	v_add3_u32 v24, v4, v5, v83
	v_fma_f64 v[118:119], v[20:21], 2.0, -v[76:77]
	ds_write2_b64 v48, v[22:23], v[8:9] offset1:10
	ds_write2_b64 v48, v[34:35], v[40:41] offset0:20 offset1:30
	ds_write2_b64 v24, v[10:11], v[0:1] offset1:10
	ds_write2_b64 v24, v[42:43], v[2:3] offset0:20 offset1:30
	s_waitcnt lgkmcnt(0)
	; wave barrier
	s_waitcnt lgkmcnt(0)
	ds_read2_b64 v[42:45], v62 offset0:160 offset1:176
	ds_read2_b64 v[4:7], v62 offset0:224 offset1:240
	ds_read_b64 v[26:27], v63
	ds_read_b64 v[112:113], v64
	;; [unrolled: 1-line block ×4, first 2 shown]
	ds_read2_b64 v[12:15], v73 offset1:16
	ds_read2_b64 v[8:11], v62 offset0:192 offset1:208
	ds_read_b64 v[20:21], v67
	ds_read_b64 v[40:41], v68
	;; [unrolled: 1-line block ×4, first 2 shown]
	ds_read2_b64 v[0:3], v73 offset0:32 offset1:48
	ds_read_b64 v[16:17], v71
	ds_read_b64 v[28:29], v72
	s_waitcnt lgkmcnt(0)
	; wave barrier
	s_waitcnt lgkmcnt(0)
	ds_write2_b64 v87, v[46:47], v[78:79] offset1:10
	ds_write2_b64 v87, v[54:55], v[74:75] offset0:20 offset1:30
	ds_write2_b64 v56, v[106:107], v[120:121] offset1:10
	ds_write2_b64 v56, v[32:33], v[108:109] offset0:20 offset1:30
	;; [unrolled: 2-line block ×5, first 2 shown]
	v_mul_u32_u24_e32 v24, 3, v82
	v_lshlrev_b32_e32 v87, 4, v24
	s_waitcnt lgkmcnt(0)
	; wave barrier
	s_waitcnt lgkmcnt(0)
	global_load_dwordx4 v[46:49], v87, s[8:9] offset:480
	global_load_dwordx4 v[50:53], v87, s[8:9] offset:496
	v_mul_i32_i24_e32 v24, 3, v90
	v_lshl_add_u64 v[78:79], v[24:25], 4, s[8:9]
	global_load_dwordx4 v[54:57], v[78:79], off offset:496
	global_load_dwordx4 v[58:61], v[78:79], off offset:512
	v_add_u32_e32 v24, -8, v82
	v_cndmask_b32_e64 v89, v24, v86, s[0:1]
	v_mul_i32_i24_e32 v24, 3, v89
	v_lshl_add_u64 v[120:121], v[24:25], 4, s[8:9]
	global_load_dwordx4 v[74:77], v[120:121], off offset:512
	ds_read_b64 v[116:117], v64
	ds_read2_b64 v[104:107], v62 offset0:160 offset1:176
	global_load_dwordx4 v[108:111], v[120:121], off offset:496
	ds_read_b64 v[32:33], v65
	ds_read_b64 v[122:123], v66
	v_cmp_lt_u32_e64 s[0:1], 39, v86
	s_waitcnt vmcnt(5) lgkmcnt(3)
	v_mul_f64 v[34:35], v[116:117], v[48:49]
	v_fma_f64 v[34:35], v[112:113], v[46:47], -v[34:35]
	v_mul_f64 v[36:37], v[112:113], v[48:49]
	global_load_dwordx4 v[112:115], v87, s[8:9] offset:880
	v_fmac_f64_e32 v[36:37], v[116:117], v[46:47]
	global_load_dwordx4 v[116:119], v87, s[8:9] offset:512
	s_waitcnt vmcnt(6) lgkmcnt(2)
	v_mul_f64 v[46:47], v[104:105], v[52:53]
	v_mul_f64 v[48:49], v[42:43], v[52:53]
	v_fma_f64 v[46:47], v[42:43], v[50:51], -v[46:47]
	v_fmac_f64_e32 v[48:49], v[104:105], v[50:51]
	global_load_dwordx4 v[50:53], v87, s[8:9] offset:1648
	s_waitcnt vmcnt(6)
	v_mul_f64 v[42:43], v[106:107], v[56:57]
	v_fma_f64 v[42:43], v[44:45], v[54:55], -v[42:43]
	v_mul_f64 v[44:45], v[44:45], v[56:57]
	v_fmac_f64_e32 v[44:45], v[106:107], v[54:55]
	ds_read2_b64 v[54:57], v73 offset1:16
	s_waitcnt vmcnt(5)
	v_mul_f64 v[106:107], v[12:13], v[60:61]
	s_waitcnt lgkmcnt(2)
	v_add_f64 v[44:45], v[32:33], -v[44:45]
	v_fma_f64 v[32:33], v[32:33], 2.0, -v[44:45]
	v_add_f64 v[42:43], v[22:23], -v[42:43]
	s_waitcnt lgkmcnt(0)
	v_mul_f64 v[104:105], v[54:55], v[60:61]
	v_fma_f64 v[104:105], v[12:13], v[58:59], -v[104:105]
	s_waitcnt vmcnt(4)
	v_mul_f64 v[12:13], v[56:57], v[76:77]
	v_fma_f64 v[124:125], v[14:15], v[74:75], -v[12:13]
	v_mul_f64 v[76:77], v[14:15], v[76:77]
	ds_read2_b64 v[12:15], v62 offset0:192 offset1:208
	v_fmac_f64_e32 v[106:107], v[54:55], v[58:59]
	v_fmac_f64_e32 v[76:77], v[56:57], v[74:75]
	global_load_dwordx4 v[54:57], v[120:121], off offset:480
	v_fma_f64 v[22:23], v[22:23], 2.0, -v[42:43]
	s_waitcnt vmcnt(4) lgkmcnt(0)
	v_mul_f64 v[58:59], v[12:13], v[110:111]
	v_fma_f64 v[74:75], v[8:9], v[108:109], -v[58:59]
	ds_read2_b64 v[58:61], v62 offset0:224 offset1:240
	v_mul_f64 v[110:111], v[8:9], v[110:111]
	v_fmac_f64_e32 v[110:111], v[12:13], v[108:109]
	s_waitcnt vmcnt(3)
	v_mul_f64 v[8:9], v[14:15], v[114:115]
	v_fma_f64 v[108:109], v[10:11], v[112:113], -v[8:9]
	v_mul_f64 v[114:115], v[10:11], v[114:115]
	global_load_dwordx4 v[8:11], v87, s[8:9] offset:864
	s_waitcnt vmcnt(3) lgkmcnt(0)
	v_mul_f64 v[12:13], v[60:61], v[118:119]
	v_fmac_f64_e32 v[114:115], v[14:15], v[112:113]
	v_fma_f64 v[112:113], v[6:7], v[116:117], -v[12:13]
	v_mul_f64 v[118:119], v[6:7], v[118:119]
	s_waitcnt vmcnt(2)
	v_mul_f64 v[6:7], v[58:59], v[52:53]
	v_fmac_f64_e32 v[118:119], v[60:61], v[116:117]
	v_fma_f64 v[60:61], v[4:5], v[50:51], -v[6:7]
	v_mul_f64 v[116:117], v[4:5], v[52:53]
	global_load_dwordx4 v[4:7], v[78:79], off offset:480
	ds_read_b64 v[78:79], v68
	global_load_dwordx4 v[12:15], v87, s[8:9] offset:1632
	v_fmac_f64_e32 v[116:117], v[58:59], v[50:51]
	global_load_dwordx4 v[50:53], v87, s[8:9] offset:1664
	s_waitcnt vmcnt(2)
	v_mul_f64 v[58:59], v[122:123], v[6:7]
	v_fma_f64 v[58:59], v[38:39], v[4:5], -v[58:59]
	v_mul_f64 v[38:39], v[38:39], v[6:7]
	v_fmac_f64_e32 v[38:39], v[122:123], v[4:5]
	s_waitcnt lgkmcnt(0)
	v_mul_f64 v[4:5], v[78:79], v[56:57]
	ds_read_b64 v[120:121], v69
	ds_read_b64 v[122:123], v70
	v_fma_f64 v[126:127], v[40:41], v[54:55], -v[4:5]
	global_load_dwordx4 v[4:7], v87, s[8:9] offset:896
	v_mul_f64 v[40:41], v[40:41], v[56:57]
	v_fmac_f64_e32 v[40:41], v[78:79], v[54:55]
	ds_read_b64 v[54:55], v72
	s_waitcnt lgkmcnt(1)
	v_mul_f64 v[56:57], v[122:123], v[10:11]
	v_fma_f64 v[56:57], v[30:31], v[8:9], -v[56:57]
	v_mul_f64 v[30:31], v[30:31], v[10:11]
	v_fmac_f64_e32 v[30:31], v[122:123], v[8:9]
	ds_read2_b64 v[8:11], v73 offset0:32 offset1:48
	s_waitcnt vmcnt(2) lgkmcnt(1)
	v_mul_f64 v[78:79], v[54:55], v[14:15]
	v_mul_f64 v[14:15], v[28:29], v[14:15]
	v_fma_f64 v[78:79], v[28:29], v[12:13], -v[78:79]
	v_fmac_f64_e32 v[14:15], v[54:55], v[12:13]
	ds_read_b64 v[12:13], v63
	s_waitcnt vmcnt(0) lgkmcnt(1)
	v_mul_f64 v[28:29], v[8:9], v[6:7]
	v_fma_f64 v[28:29], v[0:1], v[4:5], -v[28:29]
	v_mul_f64 v[0:1], v[0:1], v[6:7]
	v_mul_f64 v[6:7], v[10:11], v[52:53]
	v_fmac_f64_e32 v[0:1], v[8:9], v[4:5]
	ds_read_b64 v[4:5], v67
	ds_read_b64 v[8:9], v71
	v_fma_f64 v[6:7], v[2:3], v[50:51], -v[6:7]
	v_mul_f64 v[2:3], v[2:3], v[52:53]
	v_fmac_f64_e32 v[2:3], v[10:11], v[50:51]
	v_add_f64 v[10:11], v[26:27], -v[46:47]
	s_waitcnt lgkmcnt(2)
	v_add_f64 v[46:47], v[12:13], -v[48:49]
	v_add_f64 v[48:49], v[34:35], -v[112:113]
	;; [unrolled: 1-line block ×3, first 2 shown]
	v_fma_f64 v[12:13], v[12:13], 2.0, -v[46:47]
	v_fma_f64 v[34:35], v[34:35], 2.0, -v[48:49]
	;; [unrolled: 1-line block ×3, first 2 shown]
	v_add_f64 v[112:113], v[46:47], v[48:49]
	v_add_f64 v[48:49], v[38:39], -v[106:107]
	v_add_f64 v[36:37], v[12:13], -v[36:37]
	v_fma_f64 v[118:119], v[46:47], 2.0, -v[112:113]
	v_add_f64 v[46:47], v[58:59], -v[104:105]
	v_fma_f64 v[38:39], v[38:39], 2.0, -v[48:49]
	v_fma_f64 v[54:55], v[12:13], 2.0, -v[36:37]
	v_add_f64 v[12:13], v[10:11], -v[50:51]
	v_fma_f64 v[50:51], v[58:59], 2.0, -v[46:47]
	v_add_f64 v[58:59], v[32:33], -v[38:39]
	v_add_f64 v[106:107], v[44:45], v[46:47]
	v_fma_f64 v[104:105], v[32:33], 2.0, -v[58:59]
	v_add_f64 v[32:33], v[42:43], -v[48:49]
	v_fma_f64 v[122:123], v[44:45], 2.0, -v[106:107]
	s_waitcnt lgkmcnt(1)
	v_add_f64 v[44:45], v[4:5], -v[110:111]
	v_add_f64 v[46:47], v[126:127], -v[124:125]
	v_add_f64 v[48:49], v[40:41], -v[76:77]
	v_fma_f64 v[4:5], v[4:5], 2.0, -v[44:45]
	v_fma_f64 v[40:41], v[40:41], 2.0, -v[48:49]
	v_add_f64 v[110:111], v[44:45], v[46:47]
	v_fma_f64 v[38:39], v[42:43], 2.0, -v[32:33]
	v_add_f64 v[42:43], v[20:21], -v[74:75]
	v_add_f64 v[74:75], v[4:5], -v[40:41]
	v_fma_f64 v[124:125], v[44:45], 2.0, -v[110:111]
	v_add_f64 v[44:45], v[120:121], -v[114:115]
	v_add_f64 v[28:29], v[56:57], -v[28:29]
	v_fma_f64 v[76:77], v[4:5], 2.0, -v[74:75]
	v_add_f64 v[4:5], v[42:43], -v[48:49]
	v_fma_f64 v[48:49], v[56:57], 2.0, -v[28:29]
	v_add_f64 v[28:29], v[44:45], v[28:29]
	v_fma_f64 v[20:21], v[20:21], 2.0, -v[42:43]
	v_fma_f64 v[52:53], v[126:127], 2.0, -v[46:47]
	;; [unrolled: 1-line block ×3, first 2 shown]
	v_add_f64 v[42:43], v[18:19], -v[108:109]
	v_fma_f64 v[46:47], v[120:121], 2.0, -v[44:45]
	v_add_f64 v[0:1], v[30:31], -v[0:1]
	v_fma_f64 v[114:115], v[44:45], 2.0, -v[28:29]
	s_waitcnt lgkmcnt(0)
	v_add_f64 v[44:45], v[8:9], -v[116:117]
	v_add_f64 v[2:3], v[14:15], -v[2:3]
	v_fma_f64 v[30:31], v[30:31], 2.0, -v[0:1]
	v_add_f64 v[0:1], v[42:43], -v[0:1]
	v_fma_f64 v[8:9], v[8:9], 2.0, -v[44:45]
	v_fma_f64 v[14:15], v[14:15], 2.0, -v[2:3]
	v_fma_f64 v[18:19], v[18:19], 2.0, -v[42:43]
	v_add_f64 v[56:57], v[46:47], -v[30:31]
	v_fma_f64 v[30:31], v[42:43], 2.0, -v[0:1]
	v_add_f64 v[42:43], v[16:17], -v[60:61]
	v_add_f64 v[6:7], v[78:79], -v[6:7]
	;; [unrolled: 1-line block ×3, first 2 shown]
	v_fma_f64 v[26:27], v[26:27], 2.0, -v[10:11]
	v_fma_f64 v[108:109], v[46:47], 2.0, -v[56:57]
	;; [unrolled: 1-line block ×4, first 2 shown]
	v_mov_b32_e32 v8, 0x500
	v_add_f64 v[34:35], v[26:27], -v[34:35]
	v_add_f64 v[50:51], v[22:23], -v[50:51]
	v_cndmask_b32_e64 v8, 0, v8, s[0:1]
	v_fma_f64 v[26:27], v[26:27], 2.0, -v[34:35]
	v_fma_f64 v[10:11], v[10:11], 2.0, -v[12:13]
	;; [unrolled: 1-line block ×3, first 2 shown]
	v_add_f64 v[52:53], v[20:21], -v[52:53]
	v_fma_f64 v[16:17], v[16:17], 2.0, -v[42:43]
	v_add_u32_e32 v8, 0, v8
	v_lshlrev_b32_e32 v9, 3, v89
	v_fma_f64 v[20:21], v[20:21], 2.0, -v[52:53]
	v_add_f64 v[48:49], v[18:19], -v[48:49]
	v_add_f64 v[46:47], v[16:17], -v[46:47]
	;; [unrolled: 1-line block ×3, first 2 shown]
	s_waitcnt lgkmcnt(0)
	; wave barrier
	ds_write2_b64 v62, v[26:27], v[10:11] offset1:40
	ds_write2_b64 v62, v[34:35], v[12:13] offset0:80 offset1:120
	ds_write2_b64 v65, v[22:23], v[38:39] offset1:40
	ds_write2_b64 v65, v[50:51], v[32:33] offset0:80 offset1:120
	v_add3_u32 v22, v8, v9, v83
	v_fma_f64 v[18:19], v[18:19], 2.0, -v[48:49]
	v_fma_f64 v[14:15], v[16:17], 2.0, -v[46:47]
	v_add_f64 v[116:117], v[44:45], v[6:7]
	v_fma_f64 v[6:7], v[42:43], 2.0, -v[2:3]
	ds_write2_b64 v22, v[20:21], v[40:41] offset1:40
	ds_write2_b64 v22, v[52:53], v[4:5] offset0:80 offset1:120
	ds_write2_b64 v62, v[18:19], v[14:15] offset0:168 offset1:184
	;; [unrolled: 1-line block ×3, first 2 shown]
	v_add_u32_e32 v20, 0x400, v62
	v_fma_f64 v[120:121], v[44:45], 2.0, -v[116:117]
	ds_write2_b64 v20, v[48:49], v[46:47] offset0:120 offset1:136
	ds_write2_b64 v73, v[0:1], v[2:3] offset0:32 offset1:48
	s_waitcnt lgkmcnt(0)
	; wave barrier
	s_waitcnt lgkmcnt(0)
	ds_read_b64 v[42:43], v63
	ds_read2_b64 v[0:3], v62 offset0:160 offset1:176
	ds_read_b64 v[46:47], v67
	ds_read2_b64 v[4:7], v62 offset0:192 offset1:208
	ds_read2_b64 v[8:11], v62 offset0:224 offset1:240
	ds_read_b64 v[38:39], v66
	ds_read_b64 v[44:45], v65
	;; [unrolled: 1-line block ×3, first 2 shown]
	ds_read2_b64 v[12:15], v73 offset1:16
	ds_read_b64 v[32:33], v70
	ds_read_b64 v[48:49], v69
	;; [unrolled: 1-line block ×3, first 2 shown]
	ds_read2_b64 v[16:19], v73 offset0:32 offset1:48
	ds_read_b64 v[50:51], v71
	ds_read_b64 v[40:41], v72
	s_waitcnt lgkmcnt(0)
	; wave barrier
	s_waitcnt lgkmcnt(0)
	ds_write2_b64 v62, v[54:55], v[118:119] offset1:40
	ds_write2_b64 v62, v[36:37], v[112:113] offset0:80 offset1:120
	ds_write2_b64 v65, v[104:105], v[122:123] offset1:40
	ds_write2_b64 v65, v[58:59], v[106:107] offset0:80 offset1:120
	ds_write2_b64 v22, v[76:77], v[124:125] offset1:40
	ds_write2_b64 v22, v[74:75], v[110:111] offset0:80 offset1:120
	ds_write2_b64 v62, v[108:109], v[78:79] offset0:168 offset1:184
	ds_write2_b64 v62, v[114:115], v[120:121] offset0:208 offset1:224
	;; [unrolled: 1-line block ×4, first 2 shown]
	s_waitcnt lgkmcnt(0)
	; wave barrier
	s_waitcnt lgkmcnt(0)
	s_and_saveexec_b64 s[0:1], vcc
	s_cbranch_execz .LBB0_15
; %bb.14:
	v_mov_b32_e32 v103, v25
	v_lshl_add_u64 v[20:21], v[102:103], 4, s[8:9]
	v_mov_b32_e32 v97, v25
	global_load_dwordx4 v[20:23], v[20:21], off offset:2400
	v_mov_b32_e32 v101, v25
	v_lshl_add_u64 v[26:27], v[96:97], 4, s[8:9]
	global_load_dwordx4 v[26:29], v[26:27], off offset:2400
	v_mov_b32_e32 v93, v25
	v_mov_b32_e32 v99, v25
	v_lshl_add_u64 v[34:35], v[100:101], 4, s[8:9]
	v_lshl_add_u64 v[54:55], v[92:93], 4, s[8:9]
	;; [unrolled: 1-line block ×3, first 2 shown]
	global_load_dwordx4 v[34:37], v[34:35], off offset:2400
	v_mov_b32_e32 v89, v25
	global_load_dwordx4 v[54:57], v[54:55], off offset:2400
	v_lshl_add_u64 v[74:75], v[88:89], 4, s[8:9]
	global_load_dwordx4 v[58:61], v[58:59], off offset:2400
	v_mov_b32_e32 v95, v25
	global_load_dwordx4 v[74:77], v[74:75], off offset:2400
	v_lshl_add_u64 v[78:79], v[94:95], 4, s[8:9]
	global_load_dwordx4 v[92:95], v[78:79], off offset:2400
	v_mov_b32_e32 v87, v25
	v_lshl_add_u64 v[78:79], v[86:87], 4, s[8:9]
	global_load_dwordx4 v[86:89], v[78:79], off offset:2400
	v_mov_b32_e32 v91, v25
	v_lshl_add_u64 v[78:79], v[90:91], 4, s[8:9]
	ds_read2_b64 v[96:99], v73 offset0:32 offset1:48
	ds_read2_b64 v[100:103], v73 offset1:16
	ds_read2_b64 v[104:107], v62 offset0:224 offset1:240
	global_load_dwordx4 v[108:111], v[78:79], off offset:2400
	v_mov_b32_e32 v83, v25
	v_lshl_add_u64 v[24:25], v[82:83], 4, s[8:9]
	v_mul_lo_u32 v122, s3, v84
	v_mul_lo_u32 v123, s2, v85
	v_mad_u64_u32 v[112:113], s[0:1], s2, v84, 0
	ds_read_b64 v[72:73], v72
	ds_read_b64 v[78:79], v71
	;; [unrolled: 1-line block ×6, first 2 shown]
	global_load_dwordx4 v[68:71], v[24:25], off offset:2400
	ds_read_b64 v[66:67], v66
	ds_read_b64 v[118:119], v65
	;; [unrolled: 1-line block ×4, first 2 shown]
	s_mov_b32 s0, 0xcccccccd
	s_movk_i32 s1, 0xa0
	v_add3_u32 v113, v113, v123, v122
	s_waitcnt vmcnt(9) lgkmcnt(12)
	v_mul_f64 v[24:25], v[20:21], v[98:99]
	v_mul_f64 v[98:99], v[22:23], v[98:99]
	v_fmac_f64_e32 v[24:25], v[18:19], v[22:23]
	v_fma_f64 v[18:19], v[18:19], v[20:21], -v[98:99]
	s_waitcnt vmcnt(8)
	v_mul_f64 v[20:21], v[16:17], v[28:29]
	v_mul_f64 v[22:23], v[96:97], v[28:29]
	v_fmac_f64_e32 v[20:21], v[96:97], v[26:27]
	v_fma_f64 v[16:17], v[16:17], v[26:27], -v[22:23]
	s_waitcnt lgkmcnt(7)
	v_add_f64 v[20:21], v[84:85], -v[20:21]
	s_waitcnt vmcnt(7)
	v_mul_f64 v[28:29], v[14:15], v[36:37]
	v_mul_f64 v[36:37], v[102:103], v[36:37]
	s_waitcnt vmcnt(6)
	v_mul_f64 v[22:23], v[12:13], v[56:57]
	v_mul_f64 v[26:27], v[100:101], v[56:57]
	;; [unrolled: 3-line block ×3, first 2 shown]
	v_fmac_f64_e32 v[28:29], v[102:103], v[34:35]
	v_fma_f64 v[14:15], v[14:15], v[34:35], -v[36:37]
	v_fmac_f64_e32 v[22:23], v[100:101], v[54:55]
	v_fma_f64 v[34:35], v[12:13], v[54:55], -v[26:27]
	v_fma_f64 v[54:55], v[10:11], v[58:59], -v[60:61]
	v_add_f64 v[54:55], v[52:53], -v[54:55]
	v_fmac_f64_e32 v[56:57], v[106:107], v[58:59]
	v_fma_f64 v[58:59], v[52:53], 2.0, -v[54:55]
	s_waitcnt vmcnt(4)
	v_mul_f64 v[52:53], v[8:9], v[76:77]
	v_add_f64 v[10:11], v[40:41], -v[18:19]
	s_waitcnt lgkmcnt(3)
	v_add_f64 v[36:37], v[66:67], -v[22:23]
	v_fmac_f64_e32 v[52:53], v[104:105], v[74:75]
	v_add_f64 v[26:27], v[30:31], -v[14:15]
	s_waitcnt lgkmcnt(1)
	v_add_f64 v[56:57], v[64:65], -v[56:57]
	v_fma_f64 v[14:15], v[40:41], 2.0, -v[10:11]
	v_fma_f64 v[40:41], v[66:67], 2.0, -v[36:37]
	v_add_f64 v[66:67], v[78:79], -v[52:53]
	v_fma_f64 v[60:61], v[64:65], 2.0, -v[56:57]
	v_fma_f64 v[52:53], v[78:79], 2.0, -v[66:67]
	v_mul_f64 v[64:65], v[104:105], v[76:77]
	ds_read2_b64 v[76:79], v62 offset0:192 offset1:208
	v_add_f64 v[12:13], v[72:73], -v[24:25]
	v_add_f64 v[18:19], v[32:33], -v[16:17]
	v_fma_f64 v[16:17], v[72:73], 2.0, -v[12:13]
	v_fma_f64 v[8:9], v[8:9], v[74:75], -v[64:65]
	s_waitcnt vmcnt(3) lgkmcnt(0)
	v_mul_f64 v[72:73], v[78:79], v[94:95]
	v_add_f64 v[64:65], v[50:51], -v[8:9]
	v_mul_f64 v[8:9], v[6:7], v[94:95]
	v_fma_f64 v[6:7], v[6:7], v[92:93], -v[72:73]
	v_fmac_f64_e32 v[8:9], v[78:79], v[92:93]
	v_add_f64 v[6:7], v[48:49], -v[6:7]
	v_add_f64 v[8:9], v[90:91], -v[8:9]
	v_fma_f64 v[72:73], v[48:49], 2.0, -v[6:7]
	s_waitcnt vmcnt(2)
	v_mul_f64 v[48:49], v[4:5], v[88:89]
	v_fma_f64 v[74:75], v[90:91], 2.0, -v[8:9]
	v_fmac_f64_e32 v[48:49], v[76:77], v[86:87]
	v_mul_f64 v[76:77], v[76:77], v[88:89]
	ds_read2_b64 v[88:91], v62 offset0:160 offset1:176
	v_fma_f64 v[4:5], v[4:5], v[86:87], -v[76:77]
	v_add_f64 v[76:77], v[46:47], -v[4:5]
	s_waitcnt vmcnt(1)
	v_mul_f64 v[4:5], v[2:3], v[110:111]
	v_fma_f64 v[24:25], v[84:85], 2.0, -v[20:21]
	s_waitcnt lgkmcnt(0)
	v_mul_f64 v[62:63], v[90:91], v[110:111]
	v_fma_f64 v[2:3], v[2:3], v[108:109], -v[62:63]
	v_add_f64 v[2:3], v[44:45], -v[2:3]
	s_waitcnt vmcnt(0)
	v_mul_f64 v[62:63], v[88:89], v[70:71]
	v_fma_f64 v[84:85], v[44:45], 2.0, -v[2:3]
	v_mul_f64 v[44:45], v[0:1], v[70:71]
	v_fma_f64 v[0:1], v[0:1], v[68:69], -v[62:63]
	v_fmac_f64_e32 v[44:45], v[88:89], v[68:69]
	v_add_f64 v[88:89], v[42:43], -v[0:1]
	v_mul_hi_u32 v0, v82, s0
	v_lshrrev_b32_e32 v0, 7, v0
	v_mul_lo_u32 v0, v0, s1
	v_sub_u32_e32 v68, v82, v0
	v_mad_u64_u32 v[62:63], s[2:3], s16, v68, 0
	v_mov_b32_e32 v0, v63
	v_mad_u64_u32 v[0:1], s[2:3], s17, v68, v[0:1]
	v_mov_b32_e32 v63, v0
	v_lshl_add_u64 v[0:1], v[112:113], 4, s[6:7]
	v_fmac_f64_e32 v[4:5], v[90:91], v[108:109]
	v_add_f64 v[90:91], v[120:121], -v[44:45]
	v_lshl_add_u64 v[0:1], v[80:81], 4, v[0:1]
	v_fma_f64 v[44:45], v[120:121], 2.0, -v[90:91]
	v_fma_f64 v[42:43], v[42:43], 2.0, -v[88:89]
	v_lshl_add_u64 v[62:63], v[62:63], 4, v[0:1]
	global_store_dwordx4 v[62:63], v[42:45], off
	v_add_f64 v[4:5], v[118:119], -v[4:5]
	v_fma_f64 v[86:87], v[118:119], 2.0, -v[4:5]
	v_add_u32_e32 v45, 0xa0, v68
	v_mad_u64_u32 v[42:43], s[2:3], s16, v45, 0
	v_mov_b32_e32 v44, v43
	v_mad_u64_u32 v[44:45], s[2:3], s17, v45, v[44:45]
	v_mov_b32_e32 v43, v44
	v_lshl_add_u64 v[42:43], v[42:43], 4, v[0:1]
	global_store_dwordx4 v[42:43], v[88:91], off
	v_add_u32_e32 v42, 16, v82
	v_mul_hi_u32 v43, v42, s0
	v_lshrrev_b32_e32 v43, 7, v43
	v_mul_lo_u32 v44, v43, s1
	v_sub_u32_e32 v42, v42, v44
	v_mad_u64_u32 v[42:43], s[2:3], v43, s4, v[42:43]
	v_mad_u64_u32 v[44:45], s[2:3], s16, v42, 0
	v_mov_b32_e32 v62, v45
	v_mad_u64_u32 v[62:63], s[2:3], s17, v42, v[62:63]
	v_mov_b32_e32 v45, v62
	v_lshl_add_u64 v[44:45], v[44:45], 4, v[0:1]
	global_store_dwordx4 v[44:45], v[84:87], off
	v_add_u32_e32 v45, 0xa0, v42
	v_mad_u64_u32 v[42:43], s[2:3], s16, v45, 0
	v_mov_b32_e32 v44, v43
	v_mad_u64_u32 v[44:45], s[2:3], s17, v45, v[44:45]
	v_mov_b32_e32 v43, v44
	v_lshl_add_u64 v[42:43], v[42:43], 4, v[0:1]
	global_store_dwordx4 v[42:43], v[2:5], off
	v_add_f64 v[78:79], v[116:117], -v[48:49]
	v_fma_f64 v[48:49], v[116:117], 2.0, -v[78:79]
	v_add_u32_e32 v2, 32, v82
	v_mul_hi_u32 v3, v2, s0
	v_lshrrev_b32_e32 v3, 7, v3
	v_mul_lo_u32 v4, v3, s1
	v_sub_u32_e32 v2, v2, v4
	v_mad_u64_u32 v[2:3], s[2:3], v3, s4, v[2:3]
	v_mad_u64_u32 v[4:5], s[2:3], s16, v2, 0
	v_mov_b32_e32 v42, v5
	v_mad_u64_u32 v[42:43], s[2:3], s17, v2, v[42:43]
	v_mov_b32_e32 v5, v42
	v_fma_f64 v[46:47], v[46:47], 2.0, -v[76:77]
	v_lshl_add_u64 v[4:5], v[4:5], 4, v[0:1]
	global_store_dwordx4 v[4:5], v[46:49], off
	v_add_u32_e32 v5, 0xa0, v2
	v_mad_u64_u32 v[2:3], s[2:3], s16, v5, 0
	v_mov_b32_e32 v4, v3
	v_mad_u64_u32 v[4:5], s[2:3], s17, v5, v[4:5]
	v_mov_b32_e32 v3, v4
	v_lshl_add_u64 v[2:3], v[2:3], 4, v[0:1]
	global_store_dwordx4 v[2:3], v[76:79], off
	v_add_u32_e32 v2, 48, v82
	v_mul_hi_u32 v3, v2, s0
	v_lshrrev_b32_e32 v3, 7, v3
	v_mul_lo_u32 v4, v3, s1
	v_sub_u32_e32 v2, v2, v4
	v_mad_u64_u32 v[2:3], s[2:3], v3, s4, v[2:3]
	v_mad_u64_u32 v[4:5], s[2:3], s16, v2, 0
	v_mov_b32_e32 v42, v5
	v_mad_u64_u32 v[42:43], s[2:3], s17, v2, v[42:43]
	v_mov_b32_e32 v5, v42
	v_lshl_add_u64 v[4:5], v[4:5], 4, v[0:1]
	global_store_dwordx4 v[4:5], v[72:75], off
	v_add_u32_e32 v5, 0xa0, v2
	v_mad_u64_u32 v[2:3], s[2:3], s16, v5, 0
	v_mov_b32_e32 v4, v3
	v_mad_u64_u32 v[4:5], s[2:3], s17, v5, v[4:5]
	v_mov_b32_e32 v3, v4
	v_lshl_add_u64 v[2:3], v[2:3], 4, v[0:1]
	global_store_dwordx4 v[2:3], v[6:9], off
	v_add_u32_e32 v2, 64, v82
	v_mul_hi_u32 v3, v2, s0
	v_lshrrev_b32_e32 v3, 7, v3
	v_mul_lo_u32 v4, v3, s1
	v_sub_u32_e32 v2, v2, v4
	v_mad_u64_u32 v[2:3], s[2:3], v3, s4, v[2:3]
	v_mad_u64_u32 v[4:5], s[2:3], s16, v2, 0
	v_mov_b32_e32 v6, v5
	v_mad_u64_u32 v[6:7], s[2:3], s17, v2, v[6:7]
	v_mov_b32_e32 v5, v6
	v_fma_f64 v[50:51], v[50:51], 2.0, -v[64:65]
	v_lshl_add_u64 v[4:5], v[4:5], 4, v[0:1]
	global_store_dwordx4 v[4:5], v[50:53], off
	v_add_u32_e32 v5, 0xa0, v2
	v_mad_u64_u32 v[2:3], s[2:3], s16, v5, 0
	v_mov_b32_e32 v4, v3
	v_mad_u64_u32 v[4:5], s[2:3], s17, v5, v[4:5]
	v_mov_b32_e32 v3, v4
	v_lshl_add_u64 v[2:3], v[2:3], 4, v[0:1]
	global_store_dwordx4 v[2:3], v[64:67], off
	v_add_u32_e32 v2, 0x50, v82
	v_mul_hi_u32 v3, v2, s0
	v_lshrrev_b32_e32 v3, 7, v3
	v_mul_lo_u32 v4, v3, s1
	v_sub_u32_e32 v2, v2, v4
	v_mad_u64_u32 v[2:3], s[2:3], v3, s4, v[2:3]
	v_mad_u64_u32 v[4:5], s[2:3], s16, v2, 0
	v_mov_b32_e32 v6, v5
	v_mad_u64_u32 v[6:7], s[2:3], s17, v2, v[6:7]
	v_mov_b32_e32 v5, v6
	v_lshl_add_u64 v[4:5], v[4:5], 4, v[0:1]
	global_store_dwordx4 v[4:5], v[58:61], off
	v_add_u32_e32 v5, 0xa0, v2
	v_mad_u64_u32 v[2:3], s[2:3], s16, v5, 0
	v_mov_b32_e32 v4, v3
	v_mad_u64_u32 v[4:5], s[2:3], s17, v5, v[4:5]
	v_mov_b32_e32 v3, v4
	v_lshl_add_u64 v[2:3], v[2:3], 4, v[0:1]
	global_store_dwordx4 v[2:3], v[54:57], off
	v_add_u32_e32 v2, 0x60, v82
	v_mul_hi_u32 v3, v2, s0
	v_lshrrev_b32_e32 v3, 7, v3
	v_mul_lo_u32 v4, v3, s1
	v_sub_u32_e32 v2, v2, v4
	v_mad_u64_u32 v[2:3], s[2:3], v3, s4, v[2:3]
	v_mad_u64_u32 v[4:5], s[2:3], s16, v2, 0
	v_mov_b32_e32 v6, v5
	v_mad_u64_u32 v[6:7], s[2:3], s17, v2, v[6:7]
	v_add_f64 v[34:35], v[38:39], -v[34:35]
	v_mov_b32_e32 v5, v6
	v_fma_f64 v[38:39], v[38:39], 2.0, -v[34:35]
	v_lshl_add_u64 v[4:5], v[4:5], 4, v[0:1]
	global_store_dwordx4 v[4:5], v[38:41], off
	v_add_u32_e32 v5, 0xa0, v2
	v_mad_u64_u32 v[2:3], s[2:3], s16, v5, 0
	v_mov_b32_e32 v4, v3
	v_mad_u64_u32 v[4:5], s[2:3], s17, v5, v[4:5]
	v_mov_b32_e32 v3, v4
	v_lshl_add_u64 v[2:3], v[2:3], 4, v[0:1]
	global_store_dwordx4 v[2:3], v[34:37], off
	v_add_u32_e32 v2, 0x70, v82
	v_mul_hi_u32 v3, v2, s0
	v_lshrrev_b32_e32 v3, 7, v3
	v_mul_lo_u32 v4, v3, s1
	v_sub_u32_e32 v2, v2, v4
	v_mad_u64_u32 v[2:3], s[2:3], v3, s4, v[2:3]
	v_mad_u64_u32 v[4:5], s[2:3], s16, v2, 0
	v_mov_b32_e32 v6, v5
	v_mad_u64_u32 v[6:7], s[2:3], s17, v2, v[6:7]
	v_add_f64 v[28:29], v[114:115], -v[28:29]
	v_mov_b32_e32 v5, v6
	v_fma_f64 v[22:23], v[32:33], 2.0, -v[18:19]
	v_fma_f64 v[32:33], v[114:115], 2.0, -v[28:29]
	;; [unrolled: 1-line block ×3, first 2 shown]
	v_lshl_add_u64 v[4:5], v[4:5], 4, v[0:1]
	global_store_dwordx4 v[4:5], v[30:33], off
	v_add_u32_e32 v5, 0xa0, v2
	v_mad_u64_u32 v[2:3], s[2:3], s16, v5, 0
	v_mov_b32_e32 v4, v3
	v_mad_u64_u32 v[4:5], s[2:3], s17, v5, v[4:5]
	v_mov_b32_e32 v3, v4
	v_lshl_add_u64 v[2:3], v[2:3], 4, v[0:1]
	global_store_dwordx4 v[2:3], v[26:29], off
	v_add_u32_e32 v2, 0x80, v82
	v_mul_hi_u32 v3, v2, s0
	v_lshrrev_b32_e32 v3, 7, v3
	v_mul_lo_u32 v4, v3, s1
	v_sub_u32_e32 v2, v2, v4
	v_mad_u64_u32 v[2:3], s[2:3], v3, s4, v[2:3]
	v_mad_u64_u32 v[4:5], s[2:3], s16, v2, 0
	v_mov_b32_e32 v6, v5
	v_mad_u64_u32 v[6:7], s[2:3], s17, v2, v[6:7]
	v_mov_b32_e32 v5, v6
	v_lshl_add_u64 v[4:5], v[4:5], 4, v[0:1]
	global_store_dwordx4 v[4:5], v[22:25], off
	v_add_u32_e32 v5, 0xa0, v2
	v_mad_u64_u32 v[2:3], s[2:3], s16, v5, 0
	v_mov_b32_e32 v4, v3
	v_mad_u64_u32 v[4:5], s[2:3], s17, v5, v[4:5]
	v_mov_b32_e32 v3, v4
	v_lshl_add_u64 v[2:3], v[2:3], 4, v[0:1]
	global_store_dwordx4 v[2:3], v[18:21], off
	v_add_u32_e32 v2, 0x90, v82
	v_mul_hi_u32 v3, v2, s0
	v_lshrrev_b32_e32 v3, 7, v3
	v_mul_lo_u32 v4, v3, s1
	v_sub_u32_e32 v2, v2, v4
	v_mad_u64_u32 v[2:3], s[0:1], v3, s4, v[2:3]
	v_mad_u64_u32 v[4:5], s[0:1], s16, v2, 0
	v_mov_b32_e32 v6, v5
	v_mad_u64_u32 v[6:7], s[0:1], s17, v2, v[6:7]
	v_mov_b32_e32 v5, v6
	v_lshl_add_u64 v[4:5], v[4:5], 4, v[0:1]
	global_store_dwordx4 v[4:5], v[14:17], off
	v_add_u32_e32 v5, 0xa0, v2
	v_mad_u64_u32 v[2:3], s[0:1], s16, v5, 0
	v_mov_b32_e32 v4, v3
	v_mad_u64_u32 v[4:5], s[0:1], s17, v5, v[4:5]
	v_mov_b32_e32 v3, v4
	v_lshl_add_u64 v[0:1], v[2:3], 4, v[0:1]
	global_store_dwordx4 v[0:1], v[10:13], off
.LBB0_15:
	s_endpgm
	.section	.rodata,"a",@progbits
	.p2align	6, 0x0
	.amdhsa_kernel fft_rtc_fwd_len320_factors_10_4_4_2_wgs_64_tpt_16_halfLds_dp_op_CI_CI_sbrr_dirReg
		.amdhsa_group_segment_fixed_size 0
		.amdhsa_private_segment_fixed_size 0
		.amdhsa_kernarg_size 104
		.amdhsa_user_sgpr_count 2
		.amdhsa_user_sgpr_dispatch_ptr 0
		.amdhsa_user_sgpr_queue_ptr 0
		.amdhsa_user_sgpr_kernarg_segment_ptr 1
		.amdhsa_user_sgpr_dispatch_id 0
		.amdhsa_user_sgpr_kernarg_preload_length 0
		.amdhsa_user_sgpr_kernarg_preload_offset 0
		.amdhsa_user_sgpr_private_segment_size 0
		.amdhsa_uses_dynamic_stack 0
		.amdhsa_enable_private_segment 0
		.amdhsa_system_sgpr_workgroup_id_x 1
		.amdhsa_system_sgpr_workgroup_id_y 0
		.amdhsa_system_sgpr_workgroup_id_z 0
		.amdhsa_system_sgpr_workgroup_info 0
		.amdhsa_system_vgpr_workitem_id 0
		.amdhsa_next_free_vgpr 134
		.amdhsa_next_free_sgpr 32
		.amdhsa_accum_offset 136
		.amdhsa_reserve_vcc 1
		.amdhsa_float_round_mode_32 0
		.amdhsa_float_round_mode_16_64 0
		.amdhsa_float_denorm_mode_32 3
		.amdhsa_float_denorm_mode_16_64 3
		.amdhsa_dx10_clamp 1
		.amdhsa_ieee_mode 1
		.amdhsa_fp16_overflow 0
		.amdhsa_tg_split 0
		.amdhsa_exception_fp_ieee_invalid_op 0
		.amdhsa_exception_fp_denorm_src 0
		.amdhsa_exception_fp_ieee_div_zero 0
		.amdhsa_exception_fp_ieee_overflow 0
		.amdhsa_exception_fp_ieee_underflow 0
		.amdhsa_exception_fp_ieee_inexact 0
		.amdhsa_exception_int_div_zero 0
	.end_amdhsa_kernel
	.text
.Lfunc_end0:
	.size	fft_rtc_fwd_len320_factors_10_4_4_2_wgs_64_tpt_16_halfLds_dp_op_CI_CI_sbrr_dirReg, .Lfunc_end0-fft_rtc_fwd_len320_factors_10_4_4_2_wgs_64_tpt_16_halfLds_dp_op_CI_CI_sbrr_dirReg
                                        ; -- End function
	.section	.AMDGPU.csdata,"",@progbits
; Kernel info:
; codeLenInByte = 10912
; NumSgprs: 38
; NumVgprs: 134
; NumAgprs: 0
; TotalNumVgprs: 134
; ScratchSize: 0
; MemoryBound: 1
; FloatMode: 240
; IeeeMode: 1
; LDSByteSize: 0 bytes/workgroup (compile time only)
; SGPRBlocks: 4
; VGPRBlocks: 16
; NumSGPRsForWavesPerEU: 38
; NumVGPRsForWavesPerEU: 134
; AccumOffset: 136
; Occupancy: 3
; WaveLimiterHint : 1
; COMPUTE_PGM_RSRC2:SCRATCH_EN: 0
; COMPUTE_PGM_RSRC2:USER_SGPR: 2
; COMPUTE_PGM_RSRC2:TRAP_HANDLER: 0
; COMPUTE_PGM_RSRC2:TGID_X_EN: 1
; COMPUTE_PGM_RSRC2:TGID_Y_EN: 0
; COMPUTE_PGM_RSRC2:TGID_Z_EN: 0
; COMPUTE_PGM_RSRC2:TIDIG_COMP_CNT: 0
; COMPUTE_PGM_RSRC3_GFX90A:ACCUM_OFFSET: 33
; COMPUTE_PGM_RSRC3_GFX90A:TG_SPLIT: 0
	.text
	.p2alignl 6, 3212836864
	.fill 256, 4, 3212836864
	.type	__hip_cuid_c35e8e220e91f74,@object ; @__hip_cuid_c35e8e220e91f74
	.section	.bss,"aw",@nobits
	.globl	__hip_cuid_c35e8e220e91f74
__hip_cuid_c35e8e220e91f74:
	.byte	0                               ; 0x0
	.size	__hip_cuid_c35e8e220e91f74, 1

	.ident	"AMD clang version 19.0.0git (https://github.com/RadeonOpenCompute/llvm-project roc-6.4.0 25133 c7fe45cf4b819c5991fe208aaa96edf142730f1d)"
	.section	".note.GNU-stack","",@progbits
	.addrsig
	.addrsig_sym __hip_cuid_c35e8e220e91f74
	.amdgpu_metadata
---
amdhsa.kernels:
  - .agpr_count:     0
    .args:
      - .actual_access:  read_only
        .address_space:  global
        .offset:         0
        .size:           8
        .value_kind:     global_buffer
      - .offset:         8
        .size:           8
        .value_kind:     by_value
      - .actual_access:  read_only
        .address_space:  global
        .offset:         16
        .size:           8
        .value_kind:     global_buffer
      - .actual_access:  read_only
        .address_space:  global
        .offset:         24
        .size:           8
        .value_kind:     global_buffer
      - .actual_access:  read_only
        .address_space:  global
        .offset:         32
        .size:           8
        .value_kind:     global_buffer
      - .offset:         40
        .size:           8
        .value_kind:     by_value
      - .actual_access:  read_only
        .address_space:  global
        .offset:         48
        .size:           8
        .value_kind:     global_buffer
      - .actual_access:  read_only
        .address_space:  global
        .offset:         56
        .size:           8
        .value_kind:     global_buffer
      - .offset:         64
        .size:           4
        .value_kind:     by_value
      - .actual_access:  read_only
        .address_space:  global
        .offset:         72
        .size:           8
        .value_kind:     global_buffer
      - .actual_access:  read_only
        .address_space:  global
        .offset:         80
        .size:           8
        .value_kind:     global_buffer
      - .actual_access:  read_only
        .address_space:  global
        .offset:         88
        .size:           8
        .value_kind:     global_buffer
      - .actual_access:  write_only
        .address_space:  global
        .offset:         96
        .size:           8
        .value_kind:     global_buffer
    .group_segment_fixed_size: 0
    .kernarg_segment_align: 8
    .kernarg_segment_size: 104
    .language:       OpenCL C
    .language_version:
      - 2
      - 0
    .max_flat_workgroup_size: 64
    .name:           fft_rtc_fwd_len320_factors_10_4_4_2_wgs_64_tpt_16_halfLds_dp_op_CI_CI_sbrr_dirReg
    .private_segment_fixed_size: 0
    .sgpr_count:     38
    .sgpr_spill_count: 0
    .symbol:         fft_rtc_fwd_len320_factors_10_4_4_2_wgs_64_tpt_16_halfLds_dp_op_CI_CI_sbrr_dirReg.kd
    .uniform_work_group_size: 1
    .uses_dynamic_stack: false
    .vgpr_count:     134
    .vgpr_spill_count: 0
    .wavefront_size: 64
amdhsa.target:   amdgcn-amd-amdhsa--gfx950
amdhsa.version:
  - 1
  - 2
...

	.end_amdgpu_metadata
